;; amdgpu-corpus repo=ROCm/rocFFT kind=compiled arch=gfx950 opt=O3
	.text
	.amdgcn_target "amdgcn-amd-amdhsa--gfx950"
	.amdhsa_code_object_version 6
	.protected	bluestein_single_fwd_len357_dim1_dp_op_CI_CI ; -- Begin function bluestein_single_fwd_len357_dim1_dp_op_CI_CI
	.globl	bluestein_single_fwd_len357_dim1_dp_op_CI_CI
	.p2align	8
	.type	bluestein_single_fwd_len357_dim1_dp_op_CI_CI,@function
bluestein_single_fwd_len357_dim1_dp_op_CI_CI: ; @bluestein_single_fwd_len357_dim1_dp_op_CI_CI
; %bb.0:
	s_load_dwordx4 s[12:15], s[0:1], 0x28
	v_mul_u32_u24_e32 v1, 0xf10, v0
	v_lshrrev_b32_e32 v2, 16, v1
	v_mad_u64_u32 v[66:67], s[2:3], s2, 11, v[2:3]
	v_mov_b32_e32 v149, 0
	v_mov_b32_e32 v67, v149
	s_waitcnt lgkmcnt(0)
	v_cmp_gt_u64_e32 vcc, s[12:13], v[66:67]
	s_and_saveexec_b64 s[2:3], vcc
	s_cbranch_execz .LBB0_15
; %bb.1:
	s_load_dwordx4 s[4:7], s[0:1], 0x18
	s_load_dwordx2 s[2:3], s[0:1], 0x0
	v_mul_lo_u16_e32 v1, 17, v2
	v_sub_u16_e32 v148, v0, v1
	v_mov_b32_e32 v4, s14
	s_waitcnt lgkmcnt(0)
	s_load_dwordx4 s[8:11], s[4:5], 0x0
	v_mov_b32_e32 v5, s15
	v_lshlrev_b32_e32 v64, 4, v148
	global_load_dwordx4 v[82:85], v64, s[2:3]
	v_mov_b32_e32 v65, v149
	s_waitcnt lgkmcnt(0)
	v_mad_u64_u32 v[0:1], s[4:5], s10, v66, 0
	v_mov_b32_e32 v2, v1
	v_mad_u64_u32 v[2:3], s[4:5], s11, v66, v[2:3]
	v_mov_b32_e32 v1, v2
	;; [unrolled: 2-line block ×3, first 2 shown]
	v_mad_u64_u32 v[6:7], s[4:5], s9, v148, v[6:7]
	s_mul_i32 s4, s9, 21
	s_mul_hi_u32 s5, s8, 21
	v_mov_b32_e32 v3, v6
	v_lshl_add_u64 v[60:61], v[0:1], 4, v[4:5]
	s_add_i32 s5, s5, s4
	s_mul_i32 s4, s8, 21
	v_lshl_add_u64 v[4:5], v[2:3], 4, v[60:61]
	s_lshl_b64 s[12:13], s[4:5], 4
	global_load_dwordx4 v[0:3], v[4:5], off
	v_lshl_add_u64 v[8:9], v[4:5], 0, s[12:13]
	global_load_dwordx4 v[4:7], v[8:9], off
	global_load_dwordx4 v[114:117], v64, s[2:3] offset:336
	v_lshl_add_u64 v[12:13], v[8:9], 0, s[12:13]
	global_load_dwordx4 v[86:89], v64, s[2:3] offset:672
	global_load_dwordx4 v[8:11], v[12:13], off
	v_lshl_add_u64 v[16:17], v[12:13], 0, s[12:13]
	global_load_dwordx4 v[12:15], v[16:17], off
	global_load_dwordx4 v[110:113], v64, s[2:3] offset:1008
	v_lshl_add_u64 v[20:21], v[16:17], 0, s[12:13]
	global_load_dwordx4 v[16:19], v[20:21], off
	global_load_dwordx4 v[90:93], v64, s[2:3] offset:1344
	v_lshl_add_u64 v[24:25], v[20:21], 0, s[12:13]
	global_load_dwordx4 v[102:105], v64, s[2:3] offset:1680
	global_load_dwordx4 v[20:23], v[24:25], off
	v_lshl_add_u64 v[28:29], v[24:25], 0, s[12:13]
	global_load_dwordx4 v[24:27], v[28:29], off
	global_load_dwordx4 v[94:97], v64, s[2:3] offset:2016
	global_load_dwordx4 v[106:109], v64, s[2:3] offset:2352
	v_lshl_add_u64 v[32:33], v[28:29], 0, s[12:13]
	global_load_dwordx4 v[28:31], v[32:33], off
	v_lshl_add_u64 v[36:37], v[32:33], 0, s[12:13]
	global_load_dwordx4 v[32:35], v[36:37], off
	global_load_dwordx4 v[98:101], v64, s[2:3] offset:2688
	v_lshl_add_u64 v[36:37], v[36:37], 0, s[12:13]
	s_mov_b32 s4, 0xba2e8ba3
	global_load_dwordx4 v[150:153], v64, s[2:3] offset:3024
	global_load_dwordx4 v[38:41], v[36:37], off
	v_mul_hi_u32 v42, v66, s4
	v_lshl_add_u64 v[36:37], v[36:37], 0, s[12:13]
	v_lshrrev_b32_e32 v46, 3, v42
	global_load_dwordx4 v[42:45], v[36:37], off
	global_load_dwordx4 v[144:147], v64, s[2:3] offset:3360
	global_load_dwordx4 v[140:143], v64, s[2:3] offset:3696
	v_lshl_add_u64 v[36:37], v[36:37], 0, s[12:13]
	v_mul_lo_u32 v58, v46, 11
	global_load_dwordx4 v[46:49], v[36:37], off
	global_load_dwordx4 v[136:139], v64, s[2:3] offset:4032
	v_lshl_add_u64 v[36:37], v[36:37], 0, s[12:13]
	s_movk_i32 s5, 0x1000
	v_lshl_add_u64 v[54:55], s[2:3], 0, v[64:65]
	global_load_dwordx4 v[50:53], v[36:37], off
	v_add_co_u32_e32 v62, vcc, s5, v54
	v_accvgpr_write_b32 a2, v54
	v_lshl_add_u64 v[36:37], v[36:37], 0, s[12:13]
	v_accvgpr_write_b32 a3, v55
	v_addc_co_u32_e32 v63, vcc, 0, v55, vcc
	global_load_dwordx4 v[54:57], v[36:37], off
	global_load_dwordx4 v[128:131], v[62:63], off offset:272
	v_lshl_add_u64 v[36:37], v[36:37], 0, s[12:13]
	v_accvgpr_write_b32 a4, v66
	v_sub_u32_e32 v58, v66, v58
	global_load_dwordx4 v[120:123], v[62:63], off offset:608
	global_load_dwordx4 v[66:69], v[36:37], off
	v_lshl_add_u64 v[36:37], v[36:37], 0, s[12:13]
	s_load_dwordx4 s[4:7], s[6:7], 0x0
	global_load_dwordx4 v[70:73], v[36:37], off
	global_load_dwordx4 v[124:127], v[62:63], off offset:944
	v_lshl_add_u64 v[36:37], v[36:37], 0, s[12:13]
	global_load_dwordx4 v[132:135], v[62:63], off offset:1280
	global_load_dwordx4 v[76:79], v[36:37], off
	v_mul_u32_u24_e32 v65, 0x165, v58
	v_lshlrev_b32_e32 v58, 4, v65
	v_mov_b32_e32 v119, v58
	v_add_u32_e32 v118, v64, v58
	s_load_dwordx2 s[10:11], s[0:1], 0x38
	v_cmp_gt_u16_e32 vcc, 4, v148
	s_waitcnt vmcnt(33)
	v_accvgpr_write_b32 a6, v82
	v_accvgpr_write_b32 a7, v83
	;; [unrolled: 1-line block ×4, first 2 shown]
	s_waitcnt vmcnt(32)
	v_mul_f64 v[80:81], v[2:3], v[84:85]
	v_mul_f64 v[58:59], v[0:1], v[84:85]
	v_fmac_f64_e32 v[80:81], v[0:1], v[82:83]
	v_fma_f64 v[82:83], v[2:3], v[82:83], -v[58:59]
	s_waitcnt vmcnt(30)
	v_mul_f64 v[0:1], v[6:7], v[116:117]
	v_mul_f64 v[2:3], v[4:5], v[116:117]
	v_fmac_f64_e32 v[0:1], v[4:5], v[114:115]
	v_fma_f64 v[2:3], v[6:7], v[114:115], -v[2:3]
	ds_write_b128 v118, v[0:3] offset:336
	s_waitcnt vmcnt(28)
	v_mul_f64 v[0:1], v[10:11], v[88:89]
	v_mul_f64 v[2:3], v[8:9], v[88:89]
	v_fmac_f64_e32 v[0:1], v[8:9], v[86:87]
	v_fma_f64 v[2:3], v[10:11], v[86:87], -v[2:3]
	ds_write_b128 v118, v[0:3] offset:672
	;; [unrolled: 6-line block ×14, first 2 shown]
	s_waitcnt vmcnt(2)
	v_mul_f64 v[0:1], v[72:73], v[126:127]
	v_mul_f64 v[2:3], v[70:71], v[126:127]
	v_fmac_f64_e32 v[0:1], v[70:71], v[124:125]
	v_fma_f64 v[2:3], v[72:73], v[124:125], -v[2:3]
	v_accvgpr_write_b32 a38, v114
	v_accvgpr_write_b32 a10, v86
	;; [unrolled: 1-line block ×15, first 2 shown]
	ds_write_b128 v118, v[0:3] offset:5040
	s_waitcnt vmcnt(0)
	v_mul_f64 v[0:1], v[78:79], v[134:135]
	v_mul_f64 v[2:3], v[76:77], v[134:135]
	v_accvgpr_write_b32 a54, v132
	v_accvgpr_write_b32 a39, v115
	;; [unrolled: 1-line block ×46, first 2 shown]
	v_fmac_f64_e32 v[0:1], v[76:77], v[132:133]
	v_accvgpr_write_b32 a55, v133
	v_accvgpr_write_b32 a56, v134
	v_accvgpr_write_b32 a57, v135
	v_fma_f64 v[2:3], v[78:79], v[132:133], -v[2:3]
	ds_write_b128 v118, v[80:83]
	ds_write_b128 v118, v[0:3] offset:5376
	s_and_saveexec_b64 s[14:15], vcc
	s_cbranch_execz .LBB0_3
; %bb.2:
	v_mov_b32_e32 v0, 0xffffec10
	v_mad_u64_u32 v[36:37], s[16:17], s8, v0, v[36:37]
	s_mul_i32 s16, s9, 0xffffec10
	s_sub_i32 s16, s16, s8
	v_add_u32_e32 v37, s16, v37
	v_accvgpr_read_b32 v85, a3
	global_load_dwordx4 v[0:3], v[36:37], off
	v_accvgpr_read_b32 v84, a2
	v_or_b32_e32 v41, 0x50, v148
	global_load_dwordx4 v[4:7], v[84:85], off offset:272
	global_load_dwordx4 v[8:11], v[84:85], off offset:608
	v_lshl_add_u64 v[36:37], v[36:37], 0, s[12:13]
	v_mad_u64_u32 v[38:39], s[18:19], s8, v41, 0
	global_load_dwordx4 v[12:15], v[84:85], off offset:944
	global_load_dwordx4 v[16:19], v[84:85], off offset:1280
	;; [unrolled: 1-line block ×6, first 2 shown]
	global_load_dwordx4 v[48:51], v[36:37], off
	v_mov_b32_e32 v40, v39
	v_lshl_add_u64 v[36:37], v[36:37], 0, s[12:13]
	v_mad_u64_u32 v[40:41], s[18:19], s9, v41, v[40:41]
	global_load_dwordx4 v[44:47], v[36:37], off
	v_mov_b32_e32 v39, v40
	v_lshl_add_u64 v[38:39], v[38:39], 4, v[60:61]
	v_mov_b32_e32 v74, 0x2a0
	global_load_dwordx4 v[40:43], v[38:39], off
	s_mul_i32 s16, s9, 0x2a0
	v_mad_u64_u32 v[66:67], s[18:19], s8, v74, v[36:37]
	v_add_u32_e32 v67, s16, v67
	v_lshl_add_u64 v[70:71], v[66:67], 0, s[12:13]
	v_or_b32_e32 v75, 0xa4, v148
	global_load_dwordx4 v[36:39], v[66:67], off
	global_load_dwordx4 v[52:55], v[84:85], off offset:2960
	global_load_dwordx4 v[56:59], v[84:85], off offset:3296
	v_mad_u64_u32 v[76:77], s[18:19], s8, v75, 0
	global_load_dwordx4 v[66:69], v[70:71], off
	v_lshl_add_u64 v[88:89], v[70:71], 0, s[12:13]
	v_mov_b32_e32 v78, v77
	global_load_dwordx4 v[70:73], v[88:89], off
	v_mad_u64_u32 v[78:79], s[18:19], s9, v75, v[78:79]
	v_mov_b32_e32 v77, v78
	v_lshl_add_u64 v[76:77], v[76:77], 4, v[60:61]
	v_mad_u64_u32 v[100:101], s[18:19], s8, v74, v[88:89]
	v_or_b32_e32 v111, 0xf8, v148
	global_load_dwordx4 v[76:79], v[76:77], off
	s_nop 0
	global_load_dwordx4 v[80:83], v[84:85], off offset:3632
	s_nop 0
	global_load_dwordx4 v[84:87], v[84:85], off offset:3968
	v_add_u32_e32 v101, s16, v101
	v_lshl_add_u64 v[104:105], v[100:101], 0, s[12:13]
	v_mad_u64_u32 v[108:109], s[18:19], s8, v111, 0
	global_load_dwordx4 v[88:91], v[100:101], off
	global_load_dwordx4 v[92:95], v[62:63], off offset:208
	global_load_dwordx4 v[96:99], v[62:63], off offset:544
	v_mov_b32_e32 v110, v109
	global_load_dwordx4 v[100:103], v[104:105], off
	v_lshl_add_u64 v[112:113], v[104:105], 0, s[12:13]
	v_mad_u64_u32 v[110:111], s[18:19], s9, v111, v[110:111]
	global_load_dwordx4 v[104:107], v[112:113], off
	v_mov_b32_e32 v109, v110
	v_lshl_add_u64 v[108:109], v[108:109], 4, v[60:61]
	global_load_dwordx4 v[108:111], v[108:109], off
	v_mad_u64_u32 v[116:117], s[18:19], s8, v74, v[112:113]
	v_or_b32_e32 v75, 0x14c, v148
	v_add_u32_e32 v117, s16, v117
	global_load_dwordx4 v[112:115], v[116:117], off
	v_mad_u64_u32 v[130:131], s[18:19], s8, v75, 0
	v_mov_b32_e32 v132, v131
	v_lshl_add_u64 v[116:117], v[116:117], 0, s[12:13]
	global_load_dwordx4 v[120:123], v[116:117], off
	v_lshl_add_u64 v[116:117], v[116:117], 0, s[12:13]
	v_mad_u64_u32 v[136:137], s[12:13], s9, v75, v[132:133]
	v_mov_b32_e32 v131, v136
	global_load_dwordx4 v[124:127], v[116:117], off
	global_load_dwordx4 v[132:135], v[62:63], off offset:880
	v_lshl_add_u64 v[60:61], v[130:131], 4, v[60:61]
	global_load_dwordx4 v[136:139], v[60:61], off
	v_lshlrev_b32_e32 v60, 4, v75
	global_load_dwordx4 v[140:143], v60, s[2:3]
	v_mad_u64_u32 v[60:61], s[8:9], s8, v74, v[116:117]
	v_add_u32_e32 v61, s16, v61
	global_load_dwordx4 v[144:147], v[60:61], off
	s_nop 0
	global_load_dwordx4 v[60:63], v[62:63], off offset:1552
	s_waitcnt vmcnt(32)
	v_mul_f64 v[128:129], v[2:3], v[6:7]
	v_fmac_f64_e32 v[128:129], v[0:1], v[4:5]
	v_mul_f64 v[0:1], v[0:1], v[6:7]
	v_fma_f64 v[130:131], v[2:3], v[4:5], -v[0:1]
	ds_write_b128 v118, v[128:131] offset:272
	s_waitcnt vmcnt(24)
	v_mul_f64 v[0:1], v[50:51], v[10:11]
	v_mul_f64 v[2:3], v[48:49], v[10:11]
	v_fmac_f64_e32 v[0:1], v[48:49], v[8:9]
	v_fma_f64 v[2:3], v[50:51], v[8:9], -v[2:3]
	ds_write_b128 v118, v[0:3] offset:608
	s_waitcnt vmcnt(23)
	v_mul_f64 v[0:1], v[46:47], v[14:15]
	v_mul_f64 v[2:3], v[44:45], v[14:15]
	v_fmac_f64_e32 v[0:1], v[44:45], v[12:13]
	;; [unrolled: 6-line block ×16, first 2 shown]
	v_fma_f64 v[2:3], v[146:147], v[60:61], -v[2:3]
	ds_write_b128 v118, v[0:3] offset:5648
.LBB0_3:
	s_or_b64 exec, exec, s[14:15]
	s_waitcnt lgkmcnt(0)
	s_barrier
	ds_read_b128 v[48:51], v118
	ds_read_b128 v[56:59], v118 offset:336
	ds_read_b128 v[44:47], v118 offset:672
	;; [unrolled: 1-line block ×16, first 2 shown]
	s_load_dwordx2 s[0:1], s[0:1], 0x8
	v_accvgpr_write_b32 a0, v148
	v_accvgpr_write_b32 a1, v149
                                        ; implicit-def: $vgpr120_vgpr121
                                        ; implicit-def: $vgpr124_vgpr125
                                        ; implicit-def: $vgpr128_vgpr129
                                        ; implicit-def: $vgpr132_vgpr133
                                        ; implicit-def: $vgpr136_vgpr137
                                        ; implicit-def: $vgpr140_vgpr141
                                        ; implicit-def: $vgpr202_vgpr203
                                        ; implicit-def: $vgpr148_vgpr149
                                        ; implicit-def: $vgpr152_vgpr153
                                        ; implicit-def: $vgpr156_vgpr157
                                        ; implicit-def: $vgpr160_vgpr161
                                        ; implicit-def: $vgpr164_vgpr165
                                        ; implicit-def: $vgpr168_vgpr169
                                        ; implicit-def: $vgpr172_vgpr173
                                        ; implicit-def: $vgpr176_vgpr177
                                        ; implicit-def: $vgpr180_vgpr181
                                        ; implicit-def: $vgpr184_vgpr185
	s_and_saveexec_b64 s[8:9], vcc
	s_cbranch_execz .LBB0_5
; %bb.4:
	ds_read_b128 v[120:123], v118 offset:272
	ds_read_b128 v[124:127], v118 offset:608
	;; [unrolled: 1-line block ×17, first 2 shown]
.LBB0_5:
	s_or_b64 exec, exec, s[8:9]
	s_waitcnt lgkmcnt(0)
	v_add_f64 v[72:73], v[50:51], v[58:59]
	v_add_f64 v[66:67], v[48:49], v[56:57]
	;; [unrolled: 1-line block ×29, first 2 shown]
	s_mov_b32 s44, 0x5d8e7cdc
	s_mov_b32 s48, 0x2a9d6da3
	;; [unrolled: 1-line block ×8, first 2 shown]
	v_add_f64 v[66:67], v[66:67], v[52:53]
	v_add_f64 v[78:79], v[72:73], v[62:63]
	;; [unrolled: 1-line block ×3, first 2 shown]
	v_add_f64 v[58:59], v[58:59], -v[62:63]
	s_mov_b32 s45, 0xbfd71e95
	s_mov_b32 s8, 0x370991
	;; [unrolled: 1-line block ×16, first 2 shown]
	v_add_f64 v[76:77], v[66:67], v[60:61]
	v_accvgpr_write_b32 a129, v79
	v_add_f64 v[66:67], v[56:57], v[60:61]
	v_add_f64 v[56:57], v[56:57], -v[60:61]
	v_mul_f64 v[60:61], v[58:59], s[44:45]
	s_mov_b32 s9, 0x3fedd6d0
	v_mul_f64 v[80:81], v[58:59], s[48:49]
	s_mov_b32 s15, 0x3fe7a5f6
	;; [unrolled: 2-line block ×8, first 2 shown]
	v_accvgpr_write_b32 a128, v78
	v_accvgpr_write_b32 a127, v77
	;; [unrolled: 1-line block ×3, first 2 shown]
	v_fma_f64 v[62:63], v[66:67], s[8:9], -v[60:61]
	v_mul_f64 v[76:77], v[56:57], s[44:45]
	v_fmac_f64_e32 v[60:61], s[8:9], v[66:67]
	v_fma_f64 v[82:83], v[66:67], s[14:15], -v[80:81]
	v_mul_f64 v[84:85], v[56:57], s[48:49]
	v_fmac_f64_e32 v[80:81], s[14:15], v[66:67]
	;; [unrolled: 3-line block ×8, first 2 shown]
	v_add_f64 v[62:63], v[48:49], v[62:63]
	v_fma_f64 v[78:79], s[8:9], v[72:73], v[76:77]
	v_add_f64 v[60:61], v[48:49], v[60:61]
	v_fma_f64 v[76:77], v[72:73], s[8:9], -v[76:77]
	v_add_f64 v[82:83], v[48:49], v[82:83]
	v_fma_f64 v[86:87], s[14:15], v[72:73], v[84:85]
	v_add_f64 v[80:81], v[48:49], v[80:81]
	v_fma_f64 v[84:85], v[72:73], s[14:15], -v[84:85]
	;; [unrolled: 4-line block ×8, first 2 shown]
	v_add_f64 v[58:59], v[46:47], v[54:55]
	v_add_f64 v[46:47], v[46:47], -v[54:55]
	v_add_f64 v[78:79], v[50:51], v[78:79]
	v_add_f64 v[76:77], v[50:51], v[76:77]
	;; [unrolled: 1-line block ×17, first 2 shown]
	v_add_f64 v[44:45], v[44:45], -v[52:53]
	v_mul_f64 v[52:53], v[46:47], s[48:49]
	v_fma_f64 v[54:55], v[56:57], s[14:15], -v[52:53]
	v_add_f64 v[54:55], v[54:55], v[62:63]
	v_mul_f64 v[62:63], v[44:45], s[48:49]
	v_fmac_f64_e32 v[52:53], s[14:15], v[56:57]
	v_fma_f64 v[66:67], s[14:15], v[58:59], v[62:63]
	v_add_f64 v[52:53], v[52:53], v[60:61]
	v_fma_f64 v[60:61], v[58:59], s[14:15], -v[62:63]
	v_mul_f64 v[62:63], v[46:47], s[46:47]
	v_add_f64 v[60:61], v[60:61], v[76:77]
	v_fma_f64 v[72:73], v[56:57], s[18:19], -v[62:63]
	v_mul_f64 v[76:77], v[44:45], s[46:47]
	v_fmac_f64_e32 v[62:63], s[18:19], v[56:57]
	v_add_f64 v[66:67], v[66:67], v[78:79]
	v_fma_f64 v[78:79], s[18:19], v[58:59], v[76:77]
	v_add_f64 v[62:63], v[62:63], v[80:81]
	v_fma_f64 v[76:77], v[58:59], s[18:19], -v[76:77]
	v_mul_f64 v[80:81], v[46:47], s[34:35]
	v_add_f64 v[72:73], v[72:73], v[82:83]
	v_add_f64 v[76:77], v[76:77], v[84:85]
	v_fma_f64 v[82:83], v[56:57], s[20:21], -v[80:81]
	v_mul_f64 v[84:85], v[44:45], s[34:35]
	v_fmac_f64_e32 v[80:81], s[20:21], v[56:57]
	v_add_f64 v[78:79], v[78:79], v[86:87]
	v_fma_f64 v[86:87], s[20:21], v[58:59], v[84:85]
	v_add_f64 v[80:81], v[80:81], v[88:89]
	v_fma_f64 v[84:85], v[58:59], s[20:21], -v[84:85]
	v_mul_f64 v[88:89], v[46:47], s[42:43]
	v_add_f64 v[82:83], v[82:83], v[90:91]
	v_add_f64 v[84:85], v[84:85], v[92:93]
	v_fma_f64 v[90:91], v[56:57], s[24:25], -v[88:89]
	v_mul_f64 v[92:93], v[44:45], s[42:43]
	v_fmac_f64_e32 v[88:89], s[24:25], v[56:57]
	s_mov_b32 s57, 0x3fe0d888
	s_mov_b32 s56, s36
	v_add_f64 v[86:87], v[86:87], v[94:95]
	v_fma_f64 v[94:95], s[24:25], v[58:59], v[92:93]
	v_add_f64 v[88:89], v[88:89], v[96:97]
	v_fma_f64 v[92:93], v[58:59], s[24:25], -v[92:93]
	v_mul_f64 v[96:97], v[46:47], s[56:57]
	v_add_f64 v[90:91], v[90:91], v[98:99]
	v_add_f64 v[92:93], v[92:93], v[100:101]
	v_fma_f64 v[98:99], v[56:57], s[22:23], -v[96:97]
	v_mul_f64 v[100:101], v[44:45], s[56:57]
	v_fmac_f64_e32 v[96:97], s[22:23], v[56:57]
	s_mov_b32 s53, 0x3feec746
	s_mov_b32 s52, s26
	;; [unrolled: 12-line block ×3, first 2 shown]
	v_add_f64 v[102:103], v[102:103], v[110:111]
	v_fma_f64 v[110:111], s[16:17], v[58:59], v[108:109]
	v_add_f64 v[104:105], v[104:105], v[112:113]
	v_fma_f64 v[108:109], v[58:59], s[16:17], -v[108:109]
	v_mul_f64 v[112:113], v[46:47], s[30:31]
	s_mov_b32 s41, 0x3fd71e95
	s_mov_b32 s40, s44
	v_add_f64 v[106:107], v[106:107], v[114:115]
	v_add_f64 v[108:109], v[108:109], v[116:117]
	v_fma_f64 v[114:115], v[56:57], s[12:13], -v[112:113]
	v_mul_f64 v[116:117], v[44:45], s[30:31]
	v_mul_f64 v[44:45], v[44:45], s[40:41]
	v_add_f64 v[114:115], v[114:115], v[192:193]
	v_fmac_f64_e32 v[112:113], s[12:13], v[56:57]
	v_mul_f64 v[46:47], v[46:47], s[40:41]
	v_fma_f64 v[192:193], s[8:9], v[58:59], v[44:45]
	v_fma_f64 v[44:45], v[58:59], s[8:9], -v[44:45]
	v_add_f64 v[112:113], v[112:113], v[190:191]
	v_fma_f64 v[190:191], v[56:57], s[8:9], -v[46:47]
	v_fmac_f64_e32 v[46:47], s[8:9], v[56:57]
	v_add_f64 v[44:45], v[44:45], v[50:51]
	v_add_f64 v[50:51], v[38:39], v[42:43]
	v_add_f64 v[38:39], v[38:39], -v[42:43]
	v_add_f64 v[46:47], v[46:47], v[48:49]
	v_add_f64 v[48:49], v[36:37], v[40:41]
	v_add_f64 v[36:37], v[36:37], -v[40:41]
	v_mul_f64 v[40:41], v[38:39], s[54:55]
	v_fma_f64 v[42:43], v[48:49], s[12:13], -v[40:41]
	v_add_f64 v[42:43], v[42:43], v[54:55]
	v_mul_f64 v[54:55], v[36:37], s[54:55]
	v_fmac_f64_e32 v[40:41], s[12:13], v[48:49]
	v_fma_f64 v[56:57], s[12:13], v[50:51], v[54:55]
	v_add_f64 v[40:41], v[40:41], v[52:53]
	v_fma_f64 v[52:53], v[50:51], s[12:13], -v[54:55]
	v_mul_f64 v[54:55], v[38:39], s[34:35]
	v_add_f64 v[110:111], v[110:111], v[188:189]
	v_fma_f64 v[188:189], s[12:13], v[58:59], v[116:117]
	v_fma_f64 v[116:117], v[58:59], s[12:13], -v[116:117]
	v_fma_f64 v[58:59], v[48:49], s[20:21], -v[54:55]
	v_fmac_f64_e32 v[54:55], s[20:21], v[48:49]
	s_mov_b32 s59, 0x3fc7851a
	s_mov_b32 s58, s42
	v_add_f64 v[52:53], v[52:53], v[60:61]
	v_mul_f64 v[60:61], v[36:37], s[34:35]
	v_add_f64 v[54:55], v[54:55], v[62:63]
	v_mul_f64 v[62:63], v[38:39], s[58:59]
	v_add_f64 v[56:57], v[56:57], v[66:67]
	v_add_f64 v[58:59], v[58:59], v[72:73]
	v_fma_f64 v[66:67], s[20:21], v[50:51], v[60:61]
	v_fma_f64 v[60:61], v[50:51], s[20:21], -v[60:61]
	v_fma_f64 v[72:73], v[48:49], s[24:25], -v[62:63]
	v_fmac_f64_e32 v[62:63], s[24:25], v[48:49]
	v_add_f64 v[60:61], v[60:61], v[76:77]
	v_mul_f64 v[76:77], v[36:37], s[58:59]
	v_add_f64 v[62:63], v[62:63], v[80:81]
	v_mul_f64 v[80:81], v[38:39], s[52:53]
	v_add_f64 v[66:67], v[66:67], v[78:79]
	v_add_f64 v[72:73], v[72:73], v[82:83]
	v_fma_f64 v[78:79], s[24:25], v[50:51], v[76:77]
	v_fma_f64 v[76:77], v[50:51], s[24:25], -v[76:77]
	v_fma_f64 v[82:83], v[48:49], s[16:17], -v[80:81]
	v_fmac_f64_e32 v[80:81], s[16:17], v[48:49]
	s_mov_b32 s39, 0x3fe58eea
	s_mov_b32 s38, s48
	v_add_f64 v[76:77], v[76:77], v[84:85]
	v_mul_f64 v[84:85], v[36:37], s[52:53]
	v_add_f64 v[80:81], v[80:81], v[88:89]
	v_mul_f64 v[88:89], v[38:39], s[38:39]
	v_add_f64 v[78:79], v[78:79], v[86:87]
	v_add_f64 v[82:83], v[82:83], v[90:91]
	v_fma_f64 v[86:87], s[16:17], v[50:51], v[84:85]
	v_fma_f64 v[84:85], v[50:51], s[16:17], -v[84:85]
	v_fma_f64 v[90:91], v[48:49], s[14:15], -v[88:89]
	v_fmac_f64_e32 v[88:89], s[14:15], v[48:49]
	v_add_f64 v[84:85], v[84:85], v[92:93]
	v_mul_f64 v[92:93], v[36:37], s[38:39]
	v_add_f64 v[88:89], v[88:89], v[96:97]
	v_mul_f64 v[96:97], v[38:39], s[44:45]
	v_add_f64 v[86:87], v[86:87], v[94:95]
	v_add_f64 v[90:91], v[90:91], v[98:99]
	v_fma_f64 v[94:95], s[14:15], v[50:51], v[92:93]
	v_fma_f64 v[92:93], v[50:51], s[14:15], -v[92:93]
	v_fma_f64 v[98:99], v[48:49], s[8:9], -v[96:97]
	v_fmac_f64_e32 v[96:97], s[8:9], v[48:49]
	;; [unrolled: 10-line block ×3, first 2 shown]
	v_mul_f64 v[38:39], v[38:39], s[36:37]
	v_add_f64 v[100:101], v[100:101], v[108:109]
	v_mul_f64 v[108:109], v[36:37], s[46:47]
	v_add_f64 v[104:105], v[104:105], v[112:113]
	v_fma_f64 v[112:113], v[48:49], s[22:23], -v[38:39]
	v_mul_f64 v[36:37], v[36:37], s[36:37]
	v_fmac_f64_e32 v[38:39], s[22:23], v[48:49]
	v_add_f64 v[106:107], v[106:107], v[114:115]
	v_fma_f64 v[114:115], s[22:23], v[50:51], v[36:37]
	v_add_f64 v[38:39], v[38:39], v[46:47]
	v_fma_f64 v[36:37], v[50:51], s[22:23], -v[36:37]
	v_add_f64 v[46:47], v[30:31], v[34:35]
	v_add_f64 v[30:31], v[30:31], -v[34:35]
	v_add_f64 v[36:37], v[36:37], v[44:45]
	v_add_f64 v[44:45], v[28:29], v[32:33]
	v_add_f64 v[28:29], v[28:29], -v[32:33]
	v_mul_f64 v[32:33], v[30:31], s[46:47]
	v_fma_f64 v[34:35], v[44:45], s[18:19], -v[32:33]
	v_add_f64 v[34:35], v[34:35], v[42:43]
	v_mul_f64 v[42:43], v[28:29], s[46:47]
	v_fmac_f64_e32 v[32:33], s[18:19], v[44:45]
	v_fma_f64 v[48:49], s[18:19], v[46:47], v[42:43]
	v_add_f64 v[32:33], v[32:33], v[40:41]
	v_fma_f64 v[40:41], v[46:47], s[18:19], -v[42:43]
	v_mul_f64 v[42:43], v[30:31], s[42:43]
	v_add_f64 v[102:103], v[102:103], v[110:111]
	v_fma_f64 v[110:111], s[18:19], v[50:51], v[108:109]
	v_fma_f64 v[108:109], v[50:51], s[18:19], -v[108:109]
	v_fma_f64 v[50:51], v[44:45], s[24:25], -v[42:43]
	v_fmac_f64_e32 v[42:43], s[24:25], v[44:45]
	v_add_f64 v[40:41], v[40:41], v[52:53]
	v_mul_f64 v[52:53], v[28:29], s[42:43]
	v_add_f64 v[42:43], v[42:43], v[54:55]
	v_mul_f64 v[54:55], v[30:31], s[52:53]
	v_add_f64 v[48:49], v[48:49], v[56:57]
	v_add_f64 v[50:51], v[50:51], v[58:59]
	v_fma_f64 v[56:57], s[24:25], v[46:47], v[52:53]
	v_fma_f64 v[52:53], v[46:47], s[24:25], -v[52:53]
	v_fma_f64 v[58:59], v[44:45], s[16:17], -v[54:55]
	v_fmac_f64_e32 v[54:55], s[16:17], v[44:45]
	v_add_f64 v[52:53], v[52:53], v[60:61]
	v_mul_f64 v[60:61], v[28:29], s[52:53]
	v_add_f64 v[54:55], v[54:55], v[62:63]
	v_mul_f64 v[62:63], v[30:31], s[40:41]
	v_add_f64 v[56:57], v[56:57], v[66:67]
	;; [unrolled: 10-line block ×4, first 2 shown]
	v_add_f64 v[82:83], v[82:83], v[90:91]
	v_fma_f64 v[86:87], s[12:13], v[46:47], v[84:85]
	v_fma_f64 v[84:85], v[46:47], s[12:13], -v[84:85]
	v_fma_f64 v[90:91], v[44:45], s[22:23], -v[88:89]
	v_fmac_f64_e32 v[88:89], s[22:23], v[44:45]
	s_mov_b32 s51, 0x3fe9895b
	s_mov_b32 s50, s34
	v_add_f64 v[84:85], v[84:85], v[92:93]
	v_mul_f64 v[92:93], v[28:29], s[36:37]
	v_add_f64 v[88:89], v[88:89], v[96:97]
	v_mul_f64 v[96:97], v[30:31], s[50:51]
	v_add_f64 v[86:87], v[86:87], v[94:95]
	v_add_f64 v[90:91], v[90:91], v[98:99]
	v_fma_f64 v[94:95], s[22:23], v[46:47], v[92:93]
	v_fma_f64 v[92:93], v[46:47], s[22:23], -v[92:93]
	v_fma_f64 v[98:99], v[44:45], s[20:21], -v[96:97]
	v_fmac_f64_e32 v[96:97], s[20:21], v[44:45]
	v_mul_f64 v[30:31], v[30:31], s[38:39]
	v_add_f64 v[92:93], v[92:93], v[100:101]
	v_mul_f64 v[100:101], v[28:29], s[50:51]
	v_add_f64 v[96:97], v[96:97], v[104:105]
	v_fma_f64 v[104:105], v[44:45], s[14:15], -v[30:31]
	v_mul_f64 v[28:29], v[28:29], s[38:39]
	v_fmac_f64_e32 v[30:31], s[14:15], v[44:45]
	v_add_f64 v[98:99], v[98:99], v[106:107]
	v_fma_f64 v[106:107], s[14:15], v[46:47], v[28:29]
	v_add_f64 v[30:31], v[30:31], v[38:39]
	v_fma_f64 v[28:29], v[46:47], s[14:15], -v[28:29]
	v_add_f64 v[38:39], v[22:23], v[26:27]
	v_add_f64 v[22:23], v[22:23], -v[26:27]
	v_add_f64 v[28:29], v[28:29], v[36:37]
	v_add_f64 v[36:37], v[20:21], v[24:25]
	v_add_f64 v[20:21], v[20:21], -v[24:25]
	v_mul_f64 v[24:25], v[22:23], s[26:27]
	v_fma_f64 v[26:27], v[36:37], s[16:17], -v[24:25]
	v_add_f64 v[26:27], v[26:27], v[34:35]
	v_mul_f64 v[34:35], v[20:21], s[26:27]
	v_fmac_f64_e32 v[24:25], s[16:17], v[36:37]
	v_fma_f64 v[44:45], s[16:17], v[38:39], v[34:35]
	v_add_f64 v[24:25], v[24:25], v[32:33]
	v_fma_f64 v[32:33], v[38:39], s[16:17], -v[34:35]
	v_mul_f64 v[34:35], v[22:23], s[56:57]
	v_add_f64 v[94:95], v[94:95], v[102:103]
	v_fma_f64 v[102:103], s[20:21], v[46:47], v[100:101]
	v_fma_f64 v[100:101], v[46:47], s[20:21], -v[100:101]
	v_add_f64 v[32:33], v[32:33], v[40:41]
	v_fma_f64 v[40:41], v[36:37], s[22:23], -v[34:35]
	v_mul_f64 v[46:47], v[20:21], s[56:57]
	v_fmac_f64_e32 v[34:35], s[22:23], v[36:37]
	v_add_f64 v[44:45], v[44:45], v[48:49]
	v_fma_f64 v[48:49], s[22:23], v[38:39], v[46:47]
	v_add_f64 v[34:35], v[34:35], v[42:43]
	v_fma_f64 v[42:43], v[38:39], s[22:23], -v[46:47]
	v_mul_f64 v[46:47], v[22:23], s[38:39]
	v_add_f64 v[40:41], v[40:41], v[50:51]
	v_fma_f64 v[50:51], v[36:37], s[14:15], -v[46:47]
	v_fmac_f64_e32 v[46:47], s[14:15], v[36:37]
	v_add_f64 v[42:43], v[42:43], v[52:53]
	v_mul_f64 v[52:53], v[20:21], s[38:39]
	v_add_f64 v[46:47], v[46:47], v[54:55]
	v_mul_f64 v[54:55], v[22:23], s[54:55]
	v_add_f64 v[48:49], v[48:49], v[56:57]
	v_add_f64 v[50:51], v[50:51], v[58:59]
	v_fma_f64 v[56:57], s[14:15], v[38:39], v[52:53]
	v_fma_f64 v[52:53], v[38:39], s[14:15], -v[52:53]
	v_fma_f64 v[58:59], v[36:37], s[12:13], -v[54:55]
	v_fmac_f64_e32 v[54:55], s[12:13], v[36:37]
	v_add_f64 v[52:53], v[52:53], v[60:61]
	v_mul_f64 v[60:61], v[20:21], s[54:55]
	v_add_f64 v[54:55], v[54:55], v[62:63]
	v_mul_f64 v[62:63], v[22:23], s[42:43]
	v_add_f64 v[56:57], v[56:57], v[66:67]
	v_add_f64 v[58:59], v[58:59], v[72:73]
	v_fma_f64 v[66:67], s[12:13], v[38:39], v[60:61]
	v_fma_f64 v[60:61], v[38:39], s[12:13], -v[60:61]
	v_fma_f64 v[72:73], v[36:37], s[24:25], -v[62:63]
	v_fmac_f64_e32 v[62:63], s[24:25], v[36:37]
	s_mov_b32 s29, 0x3fefdd0d
	s_mov_b32 s28, s46
	v_add_f64 v[60:61], v[60:61], v[76:77]
	v_mul_f64 v[76:77], v[20:21], s[42:43]
	v_add_f64 v[62:63], v[62:63], v[80:81]
	v_mul_f64 v[80:81], v[22:23], s[28:29]
	v_add_f64 v[66:67], v[66:67], v[78:79]
	v_add_f64 v[72:73], v[72:73], v[82:83]
	v_fma_f64 v[78:79], s[24:25], v[38:39], v[76:77]
	v_fma_f64 v[76:77], v[38:39], s[24:25], -v[76:77]
	v_fma_f64 v[82:83], v[36:37], s[18:19], -v[80:81]
	v_fmac_f64_e32 v[80:81], s[18:19], v[36:37]
	v_add_f64 v[76:77], v[76:77], v[84:85]
	v_mul_f64 v[84:85], v[20:21], s[28:29]
	v_add_f64 v[80:81], v[80:81], v[88:89]
	v_mul_f64 v[88:89], v[22:23], s[44:45]
	v_add_f64 v[78:79], v[78:79], v[86:87]
	v_add_f64 v[82:83], v[82:83], v[90:91]
	v_fma_f64 v[86:87], s[18:19], v[38:39], v[84:85]
	v_fma_f64 v[84:85], v[38:39], s[18:19], -v[84:85]
	v_fma_f64 v[90:91], v[36:37], s[8:9], -v[88:89]
	v_fmac_f64_e32 v[88:89], s[8:9], v[36:37]
	v_mul_f64 v[22:23], v[22:23], s[34:35]
	v_add_f64 v[84:85], v[84:85], v[92:93]
	v_mul_f64 v[92:93], v[20:21], s[44:45]
	v_add_f64 v[88:89], v[88:89], v[96:97]
	v_fma_f64 v[96:97], v[36:37], s[20:21], -v[22:23]
	v_mul_f64 v[20:21], v[20:21], s[34:35]
	v_fmac_f64_e32 v[22:23], s[20:21], v[36:37]
	v_add_f64 v[90:91], v[90:91], v[98:99]
	v_fma_f64 v[98:99], s[20:21], v[38:39], v[20:21]
	v_add_f64 v[22:23], v[22:23], v[30:31]
	v_fma_f64 v[20:21], v[38:39], s[20:21], -v[20:21]
	v_add_f64 v[30:31], v[14:15], v[18:19]
	v_add_f64 v[14:15], v[14:15], -v[18:19]
	v_add_f64 v[20:21], v[20:21], v[28:29]
	v_add_f64 v[28:29], v[12:13], v[16:17]
	v_add_f64 v[12:13], v[12:13], -v[16:17]
	v_mul_f64 v[16:17], v[14:15], s[34:35]
	v_fma_f64 v[18:19], v[28:29], s[20:21], -v[16:17]
	v_add_f64 v[18:19], v[18:19], v[26:27]
	v_mul_f64 v[26:27], v[12:13], s[34:35]
	v_fmac_f64_e32 v[16:17], s[20:21], v[28:29]
	v_fma_f64 v[36:37], s[20:21], v[30:31], v[26:27]
	v_add_f64 v[16:17], v[16:17], v[24:25]
	v_fma_f64 v[24:25], v[30:31], s[20:21], -v[26:27]
	v_mul_f64 v[26:27], v[14:15], s[52:53]
	v_add_f64 v[86:87], v[86:87], v[94:95]
	v_fma_f64 v[94:95], s[8:9], v[38:39], v[92:93]
	v_fma_f64 v[92:93], v[38:39], s[8:9], -v[92:93]
	v_add_f64 v[24:25], v[24:25], v[32:33]
	v_fma_f64 v[32:33], v[28:29], s[16:17], -v[26:27]
	v_mul_f64 v[38:39], v[12:13], s[52:53]
	v_fmac_f64_e32 v[26:27], s[16:17], v[28:29]
	v_add_f64 v[32:33], v[32:33], v[40:41]
	v_fma_f64 v[40:41], s[16:17], v[30:31], v[38:39]
	v_add_f64 v[26:27], v[26:27], v[34:35]
	v_fma_f64 v[34:35], v[30:31], s[16:17], -v[38:39]
	v_mul_f64 v[38:39], v[14:15], s[44:45]
	v_add_f64 v[34:35], v[34:35], v[42:43]
	v_fma_f64 v[42:43], v[28:29], s[8:9], -v[38:39]
	v_fmac_f64_e32 v[38:39], s[8:9], v[28:29]
	v_add_f64 v[36:37], v[36:37], v[44:45]
	v_mul_f64 v[44:45], v[12:13], s[44:45]
	v_add_f64 v[38:39], v[38:39], v[46:47]
	v_mul_f64 v[46:47], v[14:15], s[36:37]
	v_add_f64 v[40:41], v[40:41], v[48:49]
	v_add_f64 v[42:43], v[42:43], v[50:51]
	v_fma_f64 v[48:49], s[8:9], v[30:31], v[44:45]
	v_fma_f64 v[44:45], v[30:31], s[8:9], -v[44:45]
	v_fma_f64 v[50:51], v[28:29], s[22:23], -v[46:47]
	v_fmac_f64_e32 v[46:47], s[22:23], v[28:29]
	v_add_f64 v[44:45], v[44:45], v[52:53]
	v_mul_f64 v[52:53], v[12:13], s[36:37]
	v_add_f64 v[46:47], v[46:47], v[54:55]
	v_mul_f64 v[54:55], v[14:15], s[28:29]
	v_add_f64 v[48:49], v[48:49], v[56:57]
	v_add_f64 v[50:51], v[50:51], v[58:59]
	v_fma_f64 v[56:57], s[22:23], v[30:31], v[52:53]
	v_fma_f64 v[52:53], v[30:31], s[22:23], -v[52:53]
	;; [unrolled: 10-line block ×4, first 2 shown]
	v_fma_f64 v[82:83], v[28:29], s[24:25], -v[80:81]
	v_fmac_f64_e32 v[80:81], s[24:25], v[28:29]
	v_mul_f64 v[14:15], v[14:15], s[30:31]
	v_add_f64 v[76:77], v[76:77], v[84:85]
	v_mul_f64 v[84:85], v[12:13], s[42:43]
	v_add_f64 v[80:81], v[80:81], v[88:89]
	v_fma_f64 v[88:89], v[28:29], s[12:13], -v[14:15]
	v_mul_f64 v[12:13], v[12:13], s[30:31]
	v_fmac_f64_e32 v[14:15], s[12:13], v[28:29]
	v_add_f64 v[82:83], v[82:83], v[90:91]
	v_fma_f64 v[90:91], s[12:13], v[30:31], v[12:13]
	v_add_f64 v[14:15], v[14:15], v[22:23]
	v_fma_f64 v[12:13], v[30:31], s[12:13], -v[12:13]
	v_add_f64 v[22:23], v[6:7], v[10:11]
	v_add_f64 v[6:7], v[6:7], -v[10:11]
	v_add_f64 v[12:13], v[12:13], v[20:21]
	v_add_f64 v[20:21], v[4:5], v[8:9]
	v_add_f64 v[4:5], v[4:5], -v[8:9]
	v_mul_f64 v[8:9], v[6:7], s[36:37]
	v_fma_f64 v[10:11], v[20:21], s[22:23], -v[8:9]
	v_add_f64 v[10:11], v[10:11], v[18:19]
	v_mul_f64 v[18:19], v[4:5], s[36:37]
	v_fmac_f64_e32 v[8:9], s[22:23], v[20:21]
	v_fma_f64 v[28:29], s[22:23], v[22:23], v[18:19]
	v_add_f64 v[8:9], v[8:9], v[16:17]
	v_fma_f64 v[16:17], v[22:23], s[22:23], -v[18:19]
	v_mul_f64 v[18:19], v[6:7], s[30:31]
	v_add_f64 v[78:79], v[78:79], v[86:87]
	v_fma_f64 v[86:87], s[24:25], v[30:31], v[84:85]
	v_fma_f64 v[84:85], v[30:31], s[24:25], -v[84:85]
	v_add_f64 v[16:17], v[16:17], v[24:25]
	v_fma_f64 v[24:25], v[20:21], s[12:13], -v[18:19]
	v_mul_f64 v[30:31], v[4:5], s[30:31]
	v_fmac_f64_e32 v[18:19], s[12:13], v[20:21]
	v_add_f64 v[24:25], v[24:25], v[32:33]
	v_fma_f64 v[32:33], s[12:13], v[22:23], v[30:31]
	v_add_f64 v[18:19], v[18:19], v[26:27]
	v_fma_f64 v[26:27], v[22:23], s[12:13], -v[30:31]
	v_mul_f64 v[30:31], v[6:7], s[46:47]
	v_add_f64 v[26:27], v[26:27], v[34:35]
	v_fma_f64 v[34:35], v[20:21], s[18:19], -v[30:31]
	v_fmac_f64_e32 v[30:31], s[18:19], v[20:21]
	v_add_f64 v[28:29], v[28:29], v[36:37]
	v_mul_f64 v[36:37], v[4:5], s[46:47]
	v_add_f64 v[30:31], v[30:31], v[38:39]
	v_mul_f64 v[38:39], v[6:7], s[50:51]
	v_add_f64 v[32:33], v[32:33], v[40:41]
	v_add_f64 v[34:35], v[34:35], v[42:43]
	v_fma_f64 v[40:41], s[18:19], v[22:23], v[36:37]
	v_fma_f64 v[36:37], v[22:23], s[18:19], -v[36:37]
	v_fma_f64 v[42:43], v[20:21], s[20:21], -v[38:39]
	v_fmac_f64_e32 v[38:39], s[20:21], v[20:21]
	v_add_f64 v[36:37], v[36:37], v[44:45]
	v_mul_f64 v[44:45], v[4:5], s[50:51]
	v_add_f64 v[38:39], v[38:39], v[46:47]
	v_mul_f64 v[46:47], v[6:7], s[44:45]
	v_add_f64 v[40:41], v[40:41], v[48:49]
	v_add_f64 v[42:43], v[42:43], v[50:51]
	v_fma_f64 v[48:49], s[20:21], v[22:23], v[44:45]
	v_fma_f64 v[44:45], v[22:23], s[20:21], -v[44:45]
	;; [unrolled: 10-line block ×4, first 2 shown]
	v_fma_f64 v[72:73], v[20:21], s[14:15], -v[62:63]
	v_fmac_f64_e32 v[62:63], s[14:15], v[20:21]
	v_mul_f64 v[6:7], v[6:7], s[26:27]
	v_add_f64 v[60:61], v[60:61], v[76:77]
	v_mul_f64 v[76:77], v[4:5], s[38:39]
	v_add_f64 v[62:63], v[62:63], v[80:81]
	v_fma_f64 v[80:81], v[20:21], s[16:17], -v[6:7]
	v_mul_f64 v[4:5], v[4:5], s[26:27]
	v_fmac_f64_e32 v[6:7], s[16:17], v[20:21]
	v_add_f64 v[72:73], v[72:73], v[82:83]
	v_fma_f64 v[82:83], s[16:17], v[22:23], v[4:5]
	v_add_f64 v[6:7], v[6:7], v[14:15]
	v_fma_f64 v[4:5], v[22:23], s[16:17], -v[4:5]
	v_add_f64 v[14:15], v[70:71], v[2:3]
	v_add_f64 v[2:3], v[70:71], -v[2:3]
	v_add_f64 v[4:5], v[4:5], v[12:13]
	v_add_f64 v[12:13], v[68:69], v[0:1]
	v_mul_f64 v[20:21], v[2:3], s[42:43]
	v_add_f64 v[66:67], v[66:67], v[78:79]
	v_fma_f64 v[78:79], s[14:15], v[22:23], v[76:77]
	v_fma_f64 v[76:77], v[22:23], s[14:15], -v[76:77]
	v_add_f64 v[0:1], v[68:69], -v[0:1]
	v_fma_f64 v[22:23], v[12:13], s[24:25], -v[20:21]
	v_add_f64 v[188:189], v[188:189], v[196:197]
	v_add_f64 v[196:197], v[22:23], v[10:11]
	v_mul_f64 v[10:11], v[0:1], s[42:43]
	v_fmac_f64_e32 v[20:21], s[24:25], v[12:13]
	v_fma_f64 v[22:23], s[24:25], v[14:15], v[10:11]
	v_add_f64 v[20:21], v[20:21], v[8:9]
	v_fma_f64 v[8:9], v[14:15], s[24:25], -v[10:11]
	v_add_f64 v[190:191], v[190:191], v[198:199]
	v_add_f64 v[198:199], v[22:23], v[28:29]
	;; [unrolled: 1-line block ×3, first 2 shown]
	v_mul_f64 v[8:9], v[2:3], s[40:41]
	v_fma_f64 v[10:11], v[12:13], s[8:9], -v[8:9]
	v_add_f64 v[212:213], v[10:11], v[24:25]
	v_mul_f64 v[10:11], v[0:1], s[40:41]
	v_fma_f64 v[16:17], s[8:9], v[14:15], v[10:11]
	v_fmac_f64_e32 v[8:9], s[8:9], v[12:13]
	v_add_f64 v[214:215], v[16:17], v[32:33]
	v_add_f64 v[16:17], v[8:9], v[18:19]
	v_fma_f64 v[8:9], v[14:15], s[8:9], -v[10:11]
	v_add_f64 v[18:19], v[8:9], v[26:27]
	v_mul_f64 v[8:9], v[2:3], s[36:37]
	v_fma_f64 v[10:11], v[12:13], s[22:23], -v[8:9]
	v_add_f64 v[192:193], v[192:193], v[200:201]
	v_add_f64 v[216:217], v[10:11], v[34:35]
	v_mul_f64 v[10:11], v[0:1], s[36:37]
	v_fmac_f64_e32 v[8:9], s[22:23], v[12:13]
	v_add_f64 v[114:115], v[114:115], v[192:193]
	v_add_f64 v[192:193], v[8:9], v[30:31]
	v_fma_f64 v[8:9], v[14:15], s[22:23], -v[10:11]
	v_add_f64 v[116:117], v[116:117], v[194:195]
	v_accvgpr_write_b32 a143, v19
	v_add_f64 v[194:195], v[8:9], v[36:37]
	v_mul_f64 v[8:9], v[2:3], s[38:39]
	v_accvgpr_write_b32 a142, v18
	v_accvgpr_write_b32 a141, v17
	;; [unrolled: 1-line block ×3, first 2 shown]
	v_fma_f64 v[16:17], s[22:23], v[14:15], v[10:11]
	v_fma_f64 v[10:11], v[12:13], s[14:15], -v[8:9]
	v_add_f64 v[224:225], v[10:11], v[42:43]
	v_mul_f64 v[10:11], v[0:1], s[38:39]
	v_fmac_f64_e32 v[8:9], s[14:15], v[12:13]
	v_add_f64 v[208:209], v[8:9], v[38:39]
	v_fma_f64 v[8:9], v[14:15], s[14:15], -v[10:11]
	v_add_f64 v[210:211], v[8:9], v[44:45]
	v_mul_f64 v[8:9], v[2:3], s[34:35]
	v_add_f64 v[218:219], v[16:17], v[40:41]
	v_fma_f64 v[16:17], s[14:15], v[14:15], v[10:11]
	v_fma_f64 v[10:11], v[12:13], s[20:21], -v[8:9]
	v_add_f64 v[232:233], v[10:11], v[50:51]
	v_mul_f64 v[10:11], v[0:1], s[34:35]
	v_fmac_f64_e32 v[8:9], s[20:21], v[12:13]
	v_add_f64 v[220:221], v[8:9], v[46:47]
	v_fma_f64 v[8:9], v[14:15], s[20:21], -v[10:11]
	v_add_f64 v[222:223], v[8:9], v[52:53]
	v_mul_f64 v[8:9], v[2:3], s[30:31]
	v_add_f64 v[226:227], v[16:17], v[48:49]
	v_fma_f64 v[16:17], s[20:21], v[14:15], v[10:11]
	v_fma_f64 v[10:11], v[12:13], s[12:13], -v[8:9]
	v_add_f64 v[236:237], v[10:11], v[58:59]
	v_mul_f64 v[10:11], v[0:1], s[30:31]
	v_fmac_f64_e32 v[8:9], s[12:13], v[12:13]
	v_add_f64 v[108:109], v[108:109], v[116:117]
	v_add_f64 v[228:229], v[8:9], v[54:55]
	v_fma_f64 v[8:9], v[14:15], s[12:13], -v[10:11]
	v_add_f64 v[112:113], v[112:113], v[190:191]
	v_add_f64 v[100:101], v[100:101], v[108:109]
	;; [unrolled: 1-line block ×3, first 2 shown]
	v_mul_f64 v[8:9], v[2:3], s[26:27]
	v_add_f64 v[104:105], v[104:105], v[112:113]
	v_add_f64 v[92:93], v[92:93], v[100:101]
	;; [unrolled: 1-line block ×3, first 2 shown]
	v_fma_f64 v[16:17], s[12:13], v[14:15], v[10:11]
	v_fma_f64 v[10:11], v[12:13], s[16:17], -v[8:9]
	v_add_f64 v[96:97], v[96:97], v[104:105]
	v_add_f64 v[84:85], v[84:85], v[92:93]
	;; [unrolled: 1-line block ×3, first 2 shown]
	v_mul_f64 v[10:11], v[0:1], s[26:27]
	v_fmac_f64_e32 v[8:9], s[16:17], v[12:13]
	v_add_f64 v[88:89], v[88:89], v[96:97]
	v_add_f64 v[76:77], v[76:77], v[84:85]
	;; [unrolled: 1-line block ×3, first 2 shown]
	v_fma_f64 v[8:9], v[14:15], s[16:17], -v[10:11]
	v_mul_f64 v[2:3], v[2:3], s[28:29]
	v_add_f64 v[80:81], v[80:81], v[88:89]
	v_add_f64 v[242:243], v[8:9], v[76:77]
	v_fma_f64 v[8:9], v[12:13], s[18:19], -v[2:3]
	v_mul_f64 v[0:1], v[0:1], s[28:29]
	v_add_f64 v[106:107], v[106:107], v[114:115]
	v_add_f64 v[248:249], v[8:9], v[80:81]
	v_fma_f64 v[8:9], s[18:19], v[14:15], v[0:1]
	v_fma_f64 v[0:1], v[14:15], s[18:19], -v[0:1]
	v_add_f64 v[98:99], v[98:99], v[106:107]
	v_add_f64 v[254:255], v[0:1], v[4:5]
	v_add_f64 v[0:1], v[124:125], -v[184:185]
	v_add_f64 v[90:91], v[90:91], v[98:99]
	v_add_f64 v[238:239], v[16:17], v[66:67]
	v_fma_f64 v[16:17], s[16:17], v[14:15], v[10:11]
	v_fmac_f64_e32 v[2:3], s[18:19], v[12:13]
	v_add_f64 v[10:11], v[126:127], v[186:187]
	v_mul_f64 v[24:25], v[0:1], s[46:47]
	v_add_f64 v[82:83], v[82:83], v[90:91]
	v_add_f64 v[252:253], v[2:3], v[6:7]
	v_add_f64 v[2:3], v[126:127], -v[186:187]
	v_fma_f64 v[26:27], s[18:19], v[10:11], v[24:25]
	v_fma_f64 v[24:25], v[10:11], s[18:19], -v[24:25]
	v_add_f64 v[250:251], v[8:9], v[82:83]
	v_add_f64 v[8:9], v[124:125], v[184:185]
	;; [unrolled: 1-line block ×3, first 2 shown]
	v_mul_f64 v[24:25], v[2:3], s[26:27]
	v_add_f64 v[28:29], v[122:123], v[26:27]
	v_fma_f64 v[26:27], v[8:9], s[16:17], -v[24:25]
	v_add_f64 v[32:33], v[120:121], v[26:27]
	v_mul_f64 v[26:27], v[0:1], s[26:27]
	v_fmac_f64_e32 v[24:25], s[16:17], v[8:9]
	v_add_f64 v[36:37], v[120:121], v[24:25]
	v_fma_f64 v[24:25], v[10:11], s[16:17], -v[26:27]
	v_add_f64 v[38:39], v[122:123], v[24:25]
	v_mul_f64 v[24:25], v[2:3], s[34:35]
	v_fma_f64 v[34:35], s[16:17], v[10:11], v[26:27]
	v_fma_f64 v[26:27], v[8:9], s[20:21], -v[24:25]
	v_add_f64 v[110:111], v[110:111], v[188:189]
	v_add_f64 v[40:41], v[120:121], v[26:27]
	v_mul_f64 v[26:27], v[0:1], s[34:35]
	v_fmac_f64_e32 v[24:25], s[20:21], v[8:9]
	v_add_f64 v[102:103], v[102:103], v[110:111]
	v_add_f64 v[44:45], v[120:121], v[24:25]
	v_fma_f64 v[24:25], v[10:11], s[20:21], -v[26:27]
	v_add_f64 v[94:95], v[94:95], v[102:103]
	v_add_f64 v[46:47], v[122:123], v[24:25]
	v_mul_f64 v[24:25], v[2:3], s[36:37]
	v_add_f64 v[86:87], v[86:87], v[94:95]
	v_fma_f64 v[42:43], s[20:21], v[10:11], v[26:27]
	v_fma_f64 v[26:27], v[8:9], s[22:23], -v[24:25]
	v_add_f64 v[78:79], v[78:79], v[86:87]
	v_accvgpr_write_b32 a139, v23
	v_add_f64 v[48:49], v[120:121], v[26:27]
	v_mul_f64 v[26:27], v[0:1], s[36:37]
	v_fmac_f64_e32 v[24:25], s[22:23], v[8:9]
	v_accvgpr_write_b32 a138, v22
	v_accvgpr_write_b32 a137, v21
	;; [unrolled: 1-line block ×3, first 2 shown]
	v_add_f64 v[246:247], v[16:17], v[78:79]
	v_mul_f64 v[200:201], v[2:3], s[44:45]
	v_mul_f64 v[12:13], v[2:3], s[48:49]
	;; [unrolled: 1-line block ×4, first 2 shown]
	v_add_f64 v[52:53], v[120:121], v[24:25]
	v_fma_f64 v[24:25], v[10:11], s[22:23], -v[26:27]
	v_mul_f64 v[2:3], v[2:3], s[42:43]
	v_mul_f64 v[6:7], v[0:1], s[44:45]
	;; [unrolled: 1-line block ×4, first 2 shown]
	v_add_f64 v[54:55], v[122:123], v[24:25]
	v_fma_f64 v[24:25], v[8:9], s[24:25], -v[2:3]
	v_mul_f64 v[0:1], v[0:1], s[42:43]
	v_add_f64 v[56:57], v[120:121], v[24:25]
	v_fma_f64 v[24:25], s[24:25], v[10:11], v[0:1]
	v_fma_f64 v[0:1], v[10:11], s[24:25], -v[0:1]
	v_add_f64 v[68:69], v[130:131], -v[182:183]
	v_add_f64 v[62:63], v[122:123], v[0:1]
	v_mul_f64 v[0:1], v[68:69], s[48:49]
	v_fma_f64 v[4:5], s[8:9], v[8:9], v[200:201]
	v_add_f64 v[58:59], v[122:123], v[24:25]
	v_fmac_f64_e32 v[2:3], s[24:25], v[8:9]
	v_add_f64 v[24:25], v[128:129], v[180:181]
	v_add_f64 v[66:67], v[128:129], -v[180:181]
	v_accvgpr_write_b32 a149, v1
	v_add_f64 v[4:5], v[120:121], v[4:5]
	v_accvgpr_write_b32 a131, v7
	v_add_f64 v[60:61], v[120:121], v[2:3]
	v_mul_f64 v[2:3], v[66:67], s[48:49]
	v_accvgpr_write_b32 a148, v0
	v_fma_f64 v[0:1], s[14:15], v[24:25], v[0:1]
	v_accvgpr_write_b32 a130, v6
	v_fma_f64 v[6:7], v[10:11], s[8:9], -v[6:7]
	v_accvgpr_write_b32 a133, v13
	v_fma_f64 v[50:51], s[22:23], v[10:11], v[26:27]
	v_add_f64 v[26:27], v[130:131], v[182:183]
	v_add_f64 v[0:1], v[0:1], v[4:5]
	v_accvgpr_write_b32 a151, v3
	v_mul_f64 v[4:5], v[68:69], s[46:47]
	v_add_f64 v[6:7], v[122:123], v[6:7]
	v_accvgpr_write_b32 a132, v12
	v_fma_f64 v[12:13], s[14:15], v[8:9], v[12:13]
	v_accvgpr_write_b32 a150, v2
	v_fma_f64 v[2:3], v[26:27], s[14:15], -v[2:3]
	v_accvgpr_write_b32 a153, v5
	v_add_f64 v[12:13], v[120:121], v[12:13]
	v_accvgpr_write_b32 a135, v15
	v_add_f64 v[2:3], v[2:3], v[6:7]
	v_mul_f64 v[6:7], v[66:67], s[46:47]
	v_accvgpr_write_b32 a152, v4
	v_fma_f64 v[4:5], s[18:19], v[24:25], v[4:5]
	v_accvgpr_write_b32 a134, v14
	v_fma_f64 v[14:15], v[10:11], s[14:15], -v[14:15]
	v_accvgpr_write_b32 a145, v17
	v_add_f64 v[4:5], v[4:5], v[12:13]
	v_accvgpr_write_b32 a155, v7
	v_mul_f64 v[12:13], v[68:69], s[34:35]
	v_add_f64 v[14:15], v[122:123], v[14:15]
	v_accvgpr_write_b32 a144, v16
	v_fma_f64 v[16:17], s[12:13], v[8:9], v[16:17]
	v_accvgpr_write_b32 a154, v6
	v_fma_f64 v[6:7], v[26:27], s[18:19], -v[6:7]
	v_accvgpr_write_b32 a157, v13
	v_add_f64 v[16:17], v[120:121], v[16:17]
	v_accvgpr_write_b32 a147, v19
	v_fma_f64 v[22:23], v[8:9], s[18:19], -v[20:21]
	v_add_f64 v[6:7], v[6:7], v[14:15]
	v_mul_f64 v[14:15], v[66:67], s[34:35]
	v_accvgpr_write_b32 a156, v12
	v_fma_f64 v[12:13], s[20:21], v[24:25], v[12:13]
	v_mul_f64 v[70:71], v[68:69], s[42:43]
	v_accvgpr_write_b32 a146, v18
	v_fma_f64 v[18:19], v[10:11], s[12:13], -v[18:19]
	v_add_f64 v[22:23], v[120:121], v[22:23]
	v_fmac_f64_e32 v[20:21], s[18:19], v[8:9]
	v_add_f64 v[12:13], v[12:13], v[16:17]
	v_accvgpr_write_b32 a159, v15
	v_fma_f64 v[16:17], v[24:25], s[24:25], -v[70:71]
	v_add_f64 v[18:19], v[122:123], v[18:19]
	v_add_f64 v[20:21], v[120:121], v[20:21]
	v_accvgpr_write_b32 a158, v14
	v_fma_f64 v[14:15], v[26:27], s[20:21], -v[14:15]
	v_add_f64 v[16:17], v[16:17], v[22:23]
	v_mul_f64 v[22:23], v[66:67], s[42:43]
	v_fmac_f64_e32 v[70:71], s[24:25], v[24:25]
	v_add_f64 v[14:15], v[14:15], v[18:19]
	v_fma_f64 v[18:19], s[24:25], v[26:27], v[22:23]
	v_add_f64 v[20:21], v[70:71], v[20:21]
	v_mul_f64 v[70:71], v[68:69], s[56:57]
	v_add_f64 v[18:19], v[18:19], v[28:29]
	v_fma_f64 v[28:29], v[24:25], s[22:23], -v[70:71]
	v_fmac_f64_e32 v[70:71], s[22:23], v[24:25]
	v_fma_f64 v[22:23], v[26:27], s[24:25], -v[22:23]
	v_add_f64 v[28:29], v[28:29], v[32:33]
	v_mul_f64 v[72:73], v[66:67], s[56:57]
	v_add_f64 v[32:33], v[70:71], v[36:37]
	v_mul_f64 v[70:71], v[68:69], s[52:53]
	v_add_f64 v[34:35], v[122:123], v[34:35]
	v_add_f64 v[22:23], v[22:23], v[30:31]
	v_fma_f64 v[30:31], s[22:23], v[26:27], v[72:73]
	v_fma_f64 v[36:37], v[24:25], s[16:17], -v[70:71]
	v_add_f64 v[30:31], v[30:31], v[34:35]
	v_fma_f64 v[34:35], v[26:27], s[22:23], -v[72:73]
	v_add_f64 v[36:37], v[36:37], v[40:41]
	v_mul_f64 v[40:41], v[66:67], s[52:53]
	v_add_f64 v[34:35], v[34:35], v[38:39]
	v_fma_f64 v[38:39], s[16:17], v[26:27], v[40:41]
	v_fma_f64 v[40:41], v[26:27], s[16:17], -v[40:41]
	v_add_f64 v[42:43], v[122:123], v[42:43]
	v_add_f64 v[46:47], v[40:41], v[46:47]
	v_mul_f64 v[40:41], v[68:69], s[30:31]
	v_add_f64 v[38:39], v[38:39], v[42:43]
	v_fma_f64 v[42:43], v[24:25], s[12:13], -v[40:41]
	v_add_f64 v[48:49], v[42:43], v[48:49]
	v_mul_f64 v[42:43], v[66:67], s[30:31]
	v_fmac_f64_e32 v[40:41], s[12:13], v[24:25]
	v_add_f64 v[52:53], v[40:41], v[52:53]
	v_fma_f64 v[40:41], v[26:27], s[12:13], -v[42:43]
	v_fmac_f64_e32 v[70:71], s[16:17], v[24:25]
	v_add_f64 v[54:55], v[40:41], v[54:55]
	v_mul_f64 v[40:41], v[68:69], s[40:41]
	v_add_f64 v[44:45], v[70:71], v[44:45]
	v_fma_f64 v[70:71], s[12:13], v[26:27], v[42:43]
	v_fma_f64 v[42:43], v[24:25], s[8:9], -v[40:41]
	v_add_f64 v[56:57], v[42:43], v[56:57]
	v_mul_f64 v[42:43], v[66:67], s[40:41]
	v_fma_f64 v[66:67], s[8:9], v[26:27], v[42:43]
	v_add_f64 v[50:51], v[122:123], v[50:51]
	v_add_f64 v[58:59], v[66:67], v[58:59]
	v_fmac_f64_e32 v[40:41], s[8:9], v[24:25]
	v_add_f64 v[66:67], v[134:135], -v[178:179]
	v_add_f64 v[50:51], v[70:71], v[50:51]
	v_add_f64 v[60:61], v[40:41], v[60:61]
	v_fma_f64 v[40:41], v[26:27], s[8:9], -v[42:43]
	v_mul_f64 v[70:71], v[66:67], s[54:55]
	v_add_f64 v[62:63], v[40:41], v[62:63]
	v_add_f64 v[40:41], v[132:133], v[176:177]
	v_add_f64 v[68:69], v[132:133], -v[176:177]
	v_accvgpr_write_b32 a161, v71
	v_add_f64 v[42:43], v[134:135], v[178:179]
	v_mul_f64 v[72:73], v[68:69], s[54:55]
	v_accvgpr_write_b32 a160, v70
	v_fma_f64 v[70:71], s[12:13], v[40:41], v[70:71]
	v_add_f64 v[0:1], v[70:71], v[0:1]
	v_fma_f64 v[70:71], v[42:43], s[12:13], -v[72:73]
	v_add_f64 v[2:3], v[70:71], v[2:3]
	v_mul_f64 v[70:71], v[66:67], s[34:35]
	v_accvgpr_write_b32 a163, v73
	v_accvgpr_write_b32 a165, v71
	;; [unrolled: 1-line block ×3, first 2 shown]
	v_mul_f64 v[72:73], v[68:69], s[34:35]
	v_accvgpr_write_b32 a164, v70
	v_fma_f64 v[70:71], s[20:21], v[40:41], v[70:71]
	v_add_f64 v[4:5], v[70:71], v[4:5]
	v_fma_f64 v[70:71], v[42:43], s[20:21], -v[72:73]
	v_add_f64 v[6:7], v[70:71], v[6:7]
	v_mul_f64 v[70:71], v[66:67], s[58:59]
	v_accvgpr_write_b32 a167, v73
	v_accvgpr_write_b32 a169, v71
	;; [unrolled: 1-line block ×3, first 2 shown]
	v_mul_f64 v[72:73], v[68:69], s[58:59]
	v_accvgpr_write_b32 a168, v70
	v_fma_f64 v[70:71], s[24:25], v[40:41], v[70:71]
	v_add_f64 v[12:13], v[70:71], v[12:13]
	v_fma_f64 v[70:71], v[42:43], s[24:25], -v[72:73]
	v_accvgpr_write_b32 a171, v73
	v_add_f64 v[14:15], v[70:71], v[14:15]
	v_mul_f64 v[70:71], v[66:67], s[52:53]
	v_accvgpr_write_b32 a170, v72
	v_fma_f64 v[72:73], v[40:41], s[16:17], -v[70:71]
	v_add_f64 v[16:17], v[72:73], v[16:17]
	v_mul_f64 v[72:73], v[68:69], s[52:53]
	v_fmac_f64_e32 v[70:71], s[16:17], v[40:41]
	v_add_f64 v[20:21], v[70:71], v[20:21]
	v_fma_f64 v[70:71], v[42:43], s[16:17], -v[72:73]
	v_add_f64 v[22:23], v[70:71], v[22:23]
	v_mul_f64 v[70:71], v[66:67], s[38:39]
	v_fma_f64 v[76:77], s[16:17], v[42:43], v[72:73]
	v_fma_f64 v[72:73], v[40:41], s[14:15], -v[70:71]
	v_add_f64 v[28:29], v[72:73], v[28:29]
	v_mul_f64 v[72:73], v[68:69], s[38:39]
	v_fmac_f64_e32 v[70:71], s[14:15], v[40:41]
	v_add_f64 v[32:33], v[70:71], v[32:33]
	v_fma_f64 v[70:71], v[42:43], s[14:15], -v[72:73]
	v_add_f64 v[34:35], v[70:71], v[34:35]
	v_mul_f64 v[70:71], v[66:67], s[44:45]
	v_add_f64 v[18:19], v[76:77], v[18:19]
	v_fma_f64 v[76:77], s[14:15], v[42:43], v[72:73]
	v_fma_f64 v[72:73], v[40:41], s[8:9], -v[70:71]
	v_add_f64 v[36:37], v[72:73], v[36:37]
	v_mul_f64 v[72:73], v[68:69], s[44:45]
	v_fmac_f64_e32 v[70:71], s[8:9], v[40:41]
	v_add_f64 v[44:45], v[70:71], v[44:45]
	v_fma_f64 v[70:71], v[42:43], s[8:9], -v[72:73]
	v_add_f64 v[46:47], v[70:71], v[46:47]
	v_mul_f64 v[70:71], v[66:67], s[46:47]
	v_add_f64 v[30:31], v[76:77], v[30:31]
	v_fma_f64 v[76:77], s[8:9], v[42:43], v[72:73]
	v_fma_f64 v[72:73], v[40:41], s[18:19], -v[70:71]
	v_add_f64 v[48:49], v[72:73], v[48:49]
	v_mul_f64 v[72:73], v[68:69], s[46:47]
	v_fmac_f64_e32 v[70:71], s[18:19], v[40:41]
	v_add_f64 v[52:53], v[70:71], v[52:53]
	v_fma_f64 v[70:71], v[42:43], s[18:19], -v[72:73]
	v_add_f64 v[54:55], v[70:71], v[54:55]
	v_mul_f64 v[70:71], v[66:67], s[36:37]
	v_fma_f64 v[66:67], v[40:41], s[22:23], -v[70:71]
	v_add_f64 v[66:67], v[66:67], v[56:57]
	v_mul_f64 v[56:57], v[68:69], s[36:37]
	v_fmac_f64_e32 v[70:71], s[22:23], v[40:41]
	v_add_f64 v[80:81], v[138:139], -v[174:175]
	v_fma_f64 v[68:69], s[22:23], v[42:43], v[56:57]
	v_add_f64 v[60:61], v[70:71], v[60:61]
	v_fma_f64 v[56:57], v[42:43], s[22:23], -v[56:57]
	v_mul_f64 v[70:71], v[80:81], s[46:47]
	v_add_f64 v[62:63], v[56:57], v[62:63]
	v_add_f64 v[56:57], v[136:137], v[172:173]
	v_add_f64 v[78:79], v[136:137], -v[172:173]
	v_accvgpr_write_b32 a173, v71
	v_add_f64 v[38:39], v[76:77], v[38:39]
	v_fma_f64 v[76:77], s[18:19], v[42:43], v[72:73]
	v_add_f64 v[68:69], v[68:69], v[58:59]
	v_add_f64 v[58:59], v[138:139], v[174:175]
	v_mul_f64 v[72:73], v[78:79], s[46:47]
	v_accvgpr_write_b32 a172, v70
	v_fma_f64 v[70:71], s[18:19], v[56:57], v[70:71]
	v_add_f64 v[0:1], v[70:71], v[0:1]
	v_fma_f64 v[70:71], v[58:59], s[18:19], -v[72:73]
	v_add_f64 v[70:71], v[70:71], v[2:3]
	v_mul_f64 v[2:3], v[80:81], s[42:43]
	v_accvgpr_write_b32 a177, v3
	v_add_f64 v[50:51], v[76:77], v[50:51]
	v_accvgpr_write_b32 a175, v73
	v_mul_f64 v[76:77], v[78:79], s[42:43]
	v_accvgpr_write_b32 a176, v2
	v_fma_f64 v[2:3], s[24:25], v[56:57], v[2:3]
	v_accvgpr_write_b32 a174, v72
	v_add_f64 v[72:73], v[2:3], v[4:5]
	v_fma_f64 v[2:3], v[58:59], s[24:25], -v[76:77]
	v_add_f64 v[6:7], v[2:3], v[6:7]
	v_mul_f64 v[2:3], v[80:81], s[52:53]
	v_accvgpr_write_b32 a181, v3
	v_accvgpr_write_b32 a179, v77
	v_mul_f64 v[4:5], v[78:79], s[52:53]
	v_accvgpr_write_b32 a180, v2
	v_fma_f64 v[2:3], s[16:17], v[56:57], v[2:3]
	v_accvgpr_write_b32 a178, v76
	v_add_f64 v[76:77], v[2:3], v[12:13]
	v_fma_f64 v[2:3], v[58:59], s[16:17], -v[4:5]
	v_accvgpr_write_b32 a183, v5
	v_add_f64 v[14:15], v[2:3], v[14:15]
	v_mul_f64 v[2:3], v[80:81], s[40:41]
	v_accvgpr_write_b32 a182, v4
	v_fma_f64 v[4:5], v[56:57], s[8:9], -v[2:3]
	v_add_f64 v[16:17], v[4:5], v[16:17]
	v_mul_f64 v[4:5], v[78:79], s[40:41]
	v_fmac_f64_e32 v[2:3], s[8:9], v[56:57]
	v_add_f64 v[20:21], v[2:3], v[20:21]
	v_fma_f64 v[2:3], v[58:59], s[8:9], -v[4:5]
	v_add_f64 v[22:23], v[2:3], v[22:23]
	v_mul_f64 v[2:3], v[80:81], s[54:55]
	v_fma_f64 v[12:13], s[8:9], v[58:59], v[4:5]
	v_fma_f64 v[4:5], v[56:57], s[12:13], -v[2:3]
	v_add_f64 v[28:29], v[4:5], v[28:29]
	v_mul_f64 v[4:5], v[78:79], s[54:55]
	v_fmac_f64_e32 v[2:3], s[12:13], v[56:57]
	v_add_f64 v[32:33], v[2:3], v[32:33]
	v_fma_f64 v[2:3], v[58:59], s[12:13], -v[4:5]
	v_add_f64 v[34:35], v[2:3], v[34:35]
	v_mul_f64 v[2:3], v[80:81], s[36:37]
	v_add_f64 v[18:19], v[12:13], v[18:19]
	v_fma_f64 v[12:13], s[12:13], v[58:59], v[4:5]
	v_fma_f64 v[4:5], v[56:57], s[22:23], -v[2:3]
	v_add_f64 v[36:37], v[4:5], v[36:37]
	v_mul_f64 v[4:5], v[78:79], s[36:37]
	v_fmac_f64_e32 v[2:3], s[22:23], v[56:57]
	v_add_f64 v[44:45], v[2:3], v[44:45]
	v_fma_f64 v[2:3], v[58:59], s[22:23], -v[4:5]
	v_add_f64 v[46:47], v[2:3], v[46:47]
	v_mul_f64 v[2:3], v[80:81], s[50:51]
	v_add_f64 v[30:31], v[12:13], v[30:31]
	;; [unrolled: 10-line block ×3, first 2 shown]
	v_fma_f64 v[12:13], s[20:21], v[58:59], v[4:5]
	v_fma_f64 v[4:5], v[56:57], s[14:15], -v[2:3]
	v_add_f64 v[66:67], v[4:5], v[66:67]
	v_mul_f64 v[4:5], v[78:79], s[38:39]
	v_add_f64 v[50:51], v[12:13], v[50:51]
	v_fma_f64 v[12:13], s[14:15], v[58:59], v[4:5]
	v_fmac_f64_e32 v[2:3], s[14:15], v[56:57]
	v_add_f64 v[98:99], v[142:143], -v[170:171]
	v_add_f64 v[68:69], v[12:13], v[68:69]
	v_add_f64 v[60:61], v[2:3], v[60:61]
	v_fma_f64 v[2:3], v[58:59], s[14:15], -v[4:5]
	v_mul_f64 v[12:13], v[98:99], s[26:27]
	v_add_f64 v[62:63], v[2:3], v[62:63]
	v_add_f64 v[2:3], v[140:141], v[168:169]
	v_add_f64 v[96:97], v[140:141], -v[168:169]
	v_accvgpr_write_b32 a185, v13
	v_add_f64 v[4:5], v[142:143], v[170:171]
	v_mul_f64 v[78:79], v[96:97], s[26:27]
	v_accvgpr_write_b32 a184, v12
	v_fma_f64 v[12:13], s[16:17], v[2:3], v[12:13]
	v_add_f64 v[0:1], v[12:13], v[0:1]
	v_fma_f64 v[12:13], v[4:5], s[16:17], -v[78:79]
	v_add_f64 v[70:71], v[12:13], v[70:71]
	v_mul_f64 v[12:13], v[98:99], s[56:57]
	v_accvgpr_write_b32 a187, v79
	v_accvgpr_write_b32 a189, v13
	;; [unrolled: 1-line block ×3, first 2 shown]
	v_mul_f64 v[78:79], v[96:97], s[56:57]
	v_accvgpr_write_b32 a188, v12
	v_fma_f64 v[12:13], s[22:23], v[2:3], v[12:13]
	v_add_f64 v[72:73], v[12:13], v[72:73]
	v_accvgpr_write_b32 a191, v79
	v_fma_f64 v[12:13], v[4:5], s[22:23], -v[78:79]
	v_accvgpr_write_b32 a190, v78
	v_add_f64 v[78:79], v[12:13], v[6:7]
	v_mul_f64 v[6:7], v[98:99], s[38:39]
	v_accvgpr_write_b32 a193, v7
	v_mul_f64 v[12:13], v[96:97], s[38:39]
	v_accvgpr_write_b32 a192, v6
	v_fma_f64 v[6:7], s[14:15], v[2:3], v[6:7]
	v_add_f64 v[76:77], v[6:7], v[76:77]
	v_fma_f64 v[6:7], v[4:5], s[14:15], -v[12:13]
	v_add_f64 v[80:81], v[6:7], v[14:15]
	v_mul_f64 v[6:7], v[98:99], s[54:55]
	v_fma_f64 v[14:15], v[2:3], s[12:13], -v[6:7]
	v_add_f64 v[82:83], v[14:15], v[16:17]
	v_mul_f64 v[14:15], v[96:97], s[54:55]
	v_fmac_f64_e32 v[6:7], s[12:13], v[2:3]
	v_add_f64 v[86:87], v[6:7], v[20:21]
	v_fma_f64 v[6:7], v[4:5], s[12:13], -v[14:15]
	v_add_f64 v[88:89], v[6:7], v[22:23]
	v_mul_f64 v[6:7], v[98:99], s[42:43]
	v_fma_f64 v[16:17], s[12:13], v[4:5], v[14:15]
	v_fma_f64 v[14:15], v[2:3], s[24:25], -v[6:7]
	v_add_f64 v[90:91], v[14:15], v[28:29]
	v_mul_f64 v[14:15], v[96:97], s[42:43]
	v_fmac_f64_e32 v[6:7], s[24:25], v[2:3]
	v_add_f64 v[94:95], v[6:7], v[32:33]
	v_fma_f64 v[6:7], v[4:5], s[24:25], -v[14:15]
	v_add_f64 v[34:35], v[6:7], v[34:35]
	v_mul_f64 v[6:7], v[98:99], s[28:29]
	v_add_f64 v[84:85], v[16:17], v[18:19]
	v_fma_f64 v[16:17], s[24:25], v[4:5], v[14:15]
	v_fma_f64 v[14:15], v[2:3], s[18:19], -v[6:7]
	v_add_f64 v[36:37], v[14:15], v[36:37]
	v_mul_f64 v[14:15], v[96:97], s[28:29]
	v_fmac_f64_e32 v[6:7], s[18:19], v[2:3]
	v_add_f64 v[44:45], v[6:7], v[44:45]
	v_fma_f64 v[6:7], v[4:5], s[18:19], -v[14:15]
	v_add_f64 v[46:47], v[6:7], v[46:47]
	v_mul_f64 v[6:7], v[98:99], s[44:45]
	v_add_f64 v[92:93], v[16:17], v[30:31]
	;; [unrolled: 10-line block ×3, first 2 shown]
	v_fma_f64 v[16:17], s[8:9], v[4:5], v[14:15]
	v_fma_f64 v[14:15], v[2:3], s[20:21], -v[6:7]
	v_add_f64 v[66:67], v[14:15], v[66:67]
	v_mul_f64 v[14:15], v[96:97], s[34:35]
	v_fmac_f64_e32 v[6:7], s[20:21], v[2:3]
	v_add_f64 v[60:61], v[6:7], v[60:61]
	v_fma_f64 v[6:7], v[4:5], s[20:21], -v[14:15]
	v_add_f64 v[114:115], v[204:205], -v[166:167]
	v_add_f64 v[50:51], v[16:17], v[50:51]
	v_fma_f64 v[16:17], s[20:21], v[4:5], v[14:15]
	v_add_f64 v[62:63], v[6:7], v[62:63]
	v_add_f64 v[20:21], v[202:203], v[164:165]
	v_add_f64 v[6:7], v[202:203], -v[164:165]
	v_mul_f64 v[14:15], v[114:115], s[34:35]
	v_add_f64 v[68:69], v[16:17], v[68:69]
	v_add_f64 v[22:23], v[204:205], v[166:167]
	v_mul_f64 v[16:17], v[6:7], s[34:35]
	v_fma_f64 v[18:19], s[20:21], v[20:21], v[14:15]
	v_add_f64 v[0:1], v[18:19], v[0:1]
	v_fma_f64 v[18:19], v[22:23], s[20:21], -v[16:17]
	v_add_f64 v[70:71], v[18:19], v[70:71]
	v_mul_f64 v[18:19], v[114:115], s[52:53]
	v_mul_f64 v[28:29], v[6:7], s[52:53]
	v_fma_f64 v[30:31], s[16:17], v[20:21], v[18:19]
	v_add_f64 v[72:73], v[30:31], v[72:73]
	v_fma_f64 v[30:31], v[22:23], s[16:17], -v[28:29]
	v_add_f64 v[78:79], v[30:31], v[78:79]
	v_mul_f64 v[30:31], v[114:115], s[44:45]
	v_mul_f64 v[32:33], v[6:7], s[44:45]
	v_fma_f64 v[96:97], s[8:9], v[20:21], v[30:31]
	v_add_f64 v[76:77], v[96:97], v[76:77]
	v_fma_f64 v[96:97], v[22:23], s[8:9], -v[32:33]
	v_mul_f64 v[98:99], v[114:115], s[36:37]
	v_add_f64 v[80:81], v[96:97], v[80:81]
	v_fma_f64 v[96:97], v[20:21], s[22:23], -v[98:99]
	v_mul_f64 v[100:101], v[6:7], s[36:37]
	v_add_f64 v[82:83], v[96:97], v[82:83]
	v_fma_f64 v[96:97], s[22:23], v[22:23], v[100:101]
	v_add_f64 v[96:97], v[96:97], v[84:85]
	v_fma_f64 v[84:85], v[22:23], s[22:23], -v[100:101]
	v_fmac_f64_e32 v[98:99], s[22:23], v[20:21]
	v_add_f64 v[88:89], v[84:85], v[88:89]
	v_mul_f64 v[84:85], v[114:115], s[28:29]
	v_add_f64 v[98:99], v[98:99], v[86:87]
	v_fma_f64 v[86:87], v[20:21], s[18:19], -v[84:85]
	v_add_f64 v[90:91], v[86:87], v[90:91]
	v_mul_f64 v[86:87], v[6:7], s[28:29]
	v_fmac_f64_e32 v[84:85], s[18:19], v[20:21]
	v_fma_f64 v[100:101], s[18:19], v[22:23], v[86:87]
	v_add_f64 v[94:95], v[84:85], v[94:95]
	v_fma_f64 v[84:85], v[22:23], s[18:19], -v[86:87]
	v_add_f64 v[92:93], v[100:101], v[92:93]
	v_add_f64 v[100:101], v[84:85], v[34:35]
	v_mul_f64 v[34:35], v[114:115], s[48:49]
	v_fma_f64 v[84:85], v[20:21], s[14:15], -v[34:35]
	v_add_f64 v[102:103], v[84:85], v[36:37]
	v_mul_f64 v[36:37], v[6:7], s[48:49]
	v_fmac_f64_e32 v[34:35], s[14:15], v[20:21]
	v_add_f64 v[106:107], v[34:35], v[44:45]
	v_fma_f64 v[34:35], v[22:23], s[14:15], -v[36:37]
	v_add_f64 v[108:109], v[34:35], v[46:47]
	v_mul_f64 v[34:35], v[114:115], s[42:43]
	v_fma_f64 v[84:85], s[14:15], v[22:23], v[36:37]
	v_fma_f64 v[36:37], v[20:21], s[24:25], -v[34:35]
	v_add_f64 v[110:111], v[36:37], v[48:49]
	v_mul_f64 v[36:37], v[6:7], s[42:43]
	v_fmac_f64_e32 v[34:35], s[24:25], v[20:21]
	v_add_f64 v[52:53], v[34:35], v[52:53]
	v_fma_f64 v[34:35], v[22:23], s[24:25], -v[36:37]
	v_add_f64 v[54:55], v[34:35], v[54:55]
	v_mul_f64 v[34:35], v[114:115], s[30:31]
	v_accvgpr_write_b32 a195, v13
	v_add_f64 v[104:105], v[84:85], v[38:39]
	v_fma_f64 v[38:39], s[24:25], v[22:23], v[36:37]
	v_fma_f64 v[36:37], v[20:21], s[12:13], -v[34:35]
	v_mul_f64 v[6:7], v[6:7], s[30:31]
	v_accvgpr_write_b32 a194, v12
	v_add_f64 v[114:115], v[36:37], v[66:67]
	v_fma_f64 v[36:37], s[12:13], v[22:23], v[6:7]
	v_fmac_f64_e32 v[34:35], s[12:13], v[20:21]
	v_fma_f64 v[6:7], v[22:23], s[12:13], -v[6:7]
	v_add_f64 v[12:13], v[150:151], -v[162:163]
	v_add_f64 v[60:61], v[34:35], v[60:61]
	v_add_f64 v[62:63], v[6:7], v[62:63]
	;; [unrolled: 1-line block ×3, first 2 shown]
	v_add_f64 v[6:7], v[148:149], -v[160:161]
	v_mul_f64 v[34:35], v[12:13], s[36:37]
	v_add_f64 v[112:113], v[38:39], v[50:51]
	v_add_f64 v[116:117], v[36:37], v[68:69]
	;; [unrolled: 1-line block ×3, first 2 shown]
	v_mul_f64 v[36:37], v[6:7], s[36:37]
	v_fma_f64 v[38:39], s[22:23], v[44:45], v[34:35]
	v_add_f64 v[188:189], v[38:39], v[0:1]
	v_fma_f64 v[0:1], v[46:47], s[22:23], -v[36:37]
	v_mul_f64 v[66:67], v[12:13], s[46:47]
	v_add_f64 v[190:191], v[0:1], v[70:71]
	v_mul_f64 v[38:39], v[12:13], s[30:31]
	v_mul_f64 v[50:51], v[6:7], s[46:47]
	v_fma_f64 v[70:71], s[18:19], v[44:45], v[66:67]
	v_mul_f64 v[48:49], v[6:7], s[30:31]
	v_fma_f64 v[0:1], s[12:13], v[44:45], v[38:39]
	v_add_f64 v[86:87], v[70:71], v[76:77]
	v_fma_f64 v[70:71], v[46:47], s[18:19], -v[50:51]
	v_add_f64 v[68:69], v[0:1], v[72:73]
	v_fma_f64 v[0:1], v[46:47], s[12:13], -v[48:49]
	v_add_f64 v[84:85], v[70:71], v[80:81]
	v_mul_f64 v[70:71], v[12:13], s[50:51]
	v_add_f64 v[0:1], v[0:1], v[78:79]
	v_fma_f64 v[72:73], v[44:45], s[20:21], -v[70:71]
	v_mul_f64 v[78:79], v[6:7], s[50:51]
	v_fmac_f64_e32 v[70:71], s[20:21], v[44:45]
	v_add_f64 v[80:81], v[70:71], v[98:99]
	v_fma_f64 v[70:71], v[46:47], s[20:21], -v[78:79]
	v_add_f64 v[72:73], v[72:73], v[82:83]
	v_add_f64 v[82:83], v[70:71], v[88:89]
	v_mul_f64 v[70:71], v[12:13], s[44:45]
	v_fma_f64 v[76:77], s[20:21], v[46:47], v[78:79]
	v_fma_f64 v[78:79], v[44:45], s[8:9], -v[70:71]
	v_add_f64 v[88:89], v[78:79], v[90:91]
	v_mul_f64 v[78:79], v[6:7], s[44:45]
	v_fma_f64 v[90:91], s[8:9], v[46:47], v[78:79]
	v_fmac_f64_e32 v[70:71], s[8:9], v[44:45]
	v_add_f64 v[90:91], v[90:91], v[92:93]
	v_add_f64 v[92:93], v[70:71], v[94:95]
	v_fma_f64 v[70:71], v[46:47], s[8:9], -v[78:79]
	v_add_f64 v[94:95], v[70:71], v[100:101]
	v_mul_f64 v[70:71], v[12:13], s[42:43]
	v_fma_f64 v[78:79], v[44:45], s[24:25], -v[70:71]
	v_add_f64 v[76:77], v[76:77], v[96:97]
	v_add_f64 v[96:97], v[78:79], v[102:103]
	v_mul_f64 v[78:79], v[6:7], s[42:43]
	v_fmac_f64_e32 v[70:71], s[24:25], v[44:45]
	v_add_f64 v[100:101], v[70:71], v[106:107]
	v_fma_f64 v[70:71], v[46:47], s[24:25], -v[78:79]
	v_add_f64 v[102:103], v[70:71], v[108:109]
	v_mul_f64 v[70:71], v[12:13], s[38:39]
	v_fma_f64 v[98:99], s[24:25], v[46:47], v[78:79]
	v_fma_f64 v[78:79], v[44:45], s[14:15], -v[70:71]
	v_add_f64 v[98:99], v[98:99], v[104:105]
	v_add_f64 v[104:105], v[78:79], v[110:111]
	v_mul_f64 v[78:79], v[6:7], s[38:39]
	v_fmac_f64_e32 v[70:71], s[14:15], v[44:45]
	v_add_f64 v[108:109], v[70:71], v[52:53]
	v_fma_f64 v[52:53], v[46:47], s[14:15], -v[78:79]
	v_mul_f64 v[12:13], v[12:13], s[26:27]
	v_fma_f64 v[106:107], s[14:15], v[46:47], v[78:79]
	v_add_f64 v[110:111], v[52:53], v[54:55]
	v_fma_f64 v[52:53], v[44:45], s[16:17], -v[12:13]
	v_mul_f64 v[6:7], v[6:7], s[26:27]
	v_add_f64 v[106:107], v[106:107], v[112:113]
	v_add_f64 v[112:113], v[52:53], v[114:115]
	v_fma_f64 v[52:53], s[16:17], v[46:47], v[6:7]
	v_fmac_f64_e32 v[12:13], s[16:17], v[44:45]
	v_add_f64 v[78:79], v[154:155], -v[158:159]
	v_add_f64 v[114:115], v[52:53], v[116:117]
	v_add_f64 v[116:117], v[12:13], v[60:61]
	v_fma_f64 v[6:7], v[46:47], s[16:17], -v[6:7]
	v_add_f64 v[60:61], v[152:153], v[156:157]
	v_add_f64 v[70:71], v[152:153], -v[156:157]
	v_mul_f64 v[52:53], v[78:79], s[42:43]
	v_add_f64 v[6:7], v[6:7], v[62:63]
	v_add_f64 v[62:63], v[154:155], v[158:159]
	v_mul_f64 v[54:55], v[70:71], s[42:43]
	v_fma_f64 v[12:13], s[24:25], v[60:61], v[52:53]
	v_add_f64 v[144:145], v[12:13], v[188:189]
	v_fma_f64 v[12:13], v[62:63], s[24:25], -v[54:55]
	v_mul_f64 v[188:189], v[78:79], s[40:41]
	v_add_f64 v[146:147], v[12:13], v[190:191]
	v_accvgpr_write_b32 a74, v144
	v_mul_f64 v[190:191], v[70:71], s[40:41]
	v_fma_f64 v[12:13], s[8:9], v[60:61], v[188:189]
	v_accvgpr_write_b32 a75, v145
	v_accvgpr_write_b32 a76, v146
	;; [unrolled: 1-line block ×3, first 2 shown]
	v_add_f64 v[144:145], v[12:13], v[68:69]
	v_fma_f64 v[12:13], v[62:63], s[8:9], -v[190:191]
	v_mul_f64 v[68:69], v[78:79], s[36:37]
	v_add_f64 v[146:147], v[12:13], v[0:1]
	v_accvgpr_write_b32 a78, v144
	v_mul_f64 v[0:1], v[70:71], s[36:37]
	v_fma_f64 v[12:13], s[22:23], v[60:61], v[68:69]
	v_accvgpr_write_b32 a79, v145
	v_accvgpr_write_b32 a80, v146
	;; [unrolled: 1-line block ×3, first 2 shown]
	v_add_f64 v[144:145], v[12:13], v[86:87]
	v_fma_f64 v[12:13], v[62:63], s[22:23], -v[0:1]
	v_add_f64 v[146:147], v[12:13], v[84:85]
	v_mul_f64 v[12:13], v[78:79], s[38:39]
	v_accvgpr_write_b32 a82, v144
	v_fma_f64 v[84:85], v[60:61], s[14:15], -v[12:13]
	v_accvgpr_write_b32 a83, v145
	v_accvgpr_write_b32 a84, v146
	;; [unrolled: 1-line block ×3, first 2 shown]
	v_add_f64 v[144:145], v[84:85], v[72:73]
	v_mul_f64 v[72:73], v[70:71], s[38:39]
	v_fmac_f64_e32 v[12:13], s[14:15], v[60:61]
	v_add_f64 v[80:81], v[12:13], v[80:81]
	v_fma_f64 v[12:13], v[62:63], s[14:15], -v[72:73]
	v_add_f64 v[82:83], v[12:13], v[82:83]
	v_mul_f64 v[12:13], v[78:79], s[34:35]
	v_fma_f64 v[84:85], s[14:15], v[62:63], v[72:73]
	v_accvgpr_write_b32 a93, v83
	v_fma_f64 v[72:73], v[60:61], s[20:21], -v[12:13]
	v_accvgpr_write_b32 a92, v82
	v_accvgpr_write_b32 a91, v81
	;; [unrolled: 1-line block ×3, first 2 shown]
	v_add_f64 v[80:81], v[72:73], v[88:89]
	v_mul_f64 v[72:73], v[70:71], s[34:35]
	v_add_f64 v[146:147], v[84:85], v[76:77]
	v_fma_f64 v[76:77], s[20:21], v[62:63], v[72:73]
	v_add_f64 v[82:83], v[76:77], v[90:91]
	v_accvgpr_write_b32 a97, v83
	v_fmac_f64_e32 v[12:13], s[20:21], v[60:61]
	v_accvgpr_write_b32 a96, v82
	v_accvgpr_write_b32 a95, v81
	;; [unrolled: 1-line block ×3, first 2 shown]
	v_add_f64 v[80:81], v[12:13], v[92:93]
	v_fma_f64 v[12:13], v[62:63], s[20:21], -v[72:73]
	v_add_f64 v[82:83], v[12:13], v[94:95]
	v_mul_f64 v[12:13], v[78:79], s[30:31]
	v_accvgpr_write_b32 a101, v83
	v_fma_f64 v[72:73], v[60:61], s[12:13], -v[12:13]
	v_accvgpr_write_b32 a100, v82
	v_accvgpr_write_b32 a99, v81
	;; [unrolled: 1-line block ×3, first 2 shown]
	v_add_f64 v[80:81], v[72:73], v[96:97]
	v_mul_f64 v[72:73], v[70:71], s[30:31]
	v_fma_f64 v[76:77], s[12:13], v[62:63], v[72:73]
	v_add_f64 v[82:83], v[76:77], v[98:99]
	v_accvgpr_write_b32 a105, v83
	v_fmac_f64_e32 v[12:13], s[12:13], v[60:61]
	v_accvgpr_write_b32 a104, v82
	v_accvgpr_write_b32 a103, v81
	;; [unrolled: 1-line block ×3, first 2 shown]
	v_add_f64 v[80:81], v[12:13], v[100:101]
	v_fma_f64 v[12:13], v[62:63], s[12:13], -v[72:73]
	v_add_f64 v[82:83], v[12:13], v[102:103]
	v_mul_f64 v[12:13], v[78:79], s[26:27]
	v_accvgpr_write_b32 a109, v83
	v_fma_f64 v[72:73], v[60:61], s[16:17], -v[12:13]
	v_accvgpr_write_b32 a108, v82
	v_accvgpr_write_b32 a107, v81
	v_accvgpr_write_b32 a106, v80
	v_add_f64 v[80:81], v[72:73], v[104:105]
	v_mul_f64 v[72:73], v[70:71], s[26:27]
	v_fma_f64 v[76:77], s[16:17], v[62:63], v[72:73]
	v_add_f64 v[82:83], v[76:77], v[106:107]
	v_accvgpr_write_b32 a113, v83
	v_fmac_f64_e32 v[12:13], s[16:17], v[60:61]
	v_accvgpr_write_b32 a112, v82
	v_accvgpr_write_b32 a111, v81
	;; [unrolled: 1-line block ×3, first 2 shown]
	v_add_f64 v[80:81], v[12:13], v[108:109]
	v_fma_f64 v[12:13], v[62:63], s[16:17], -v[72:73]
	v_add_f64 v[82:83], v[12:13], v[110:111]
	v_mul_f64 v[12:13], v[78:79], s[28:29]
	v_fma_f64 v[72:73], v[60:61], s[18:19], -v[12:13]
	v_mul_f64 v[70:71], v[70:71], s[28:29]
	v_add_f64 v[76:77], v[72:73], v[112:113]
	v_fma_f64 v[72:73], s[18:19], v[62:63], v[70:71]
	v_add_f64 v[78:79], v[72:73], v[114:115]
	v_accvgpr_write_b32 a121, v79
	v_fmac_f64_e32 v[12:13], s[18:19], v[60:61]
	v_accvgpr_read_b32 v75, a1
	v_accvgpr_write_b32 a120, v78
	v_accvgpr_write_b32 a119, v77
	;; [unrolled: 1-line block ×3, first 2 shown]
	v_add_f64 v[76:77], v[12:13], v[116:117]
	v_fma_f64 v[12:13], v[62:63], s[18:19], -v[70:71]
	v_accvgpr_read_b32 v74, a0
	v_accvgpr_write_b32 a86, v144
	v_add_f64 v[78:79], v[12:13], v[6:7]
	v_lshl_add_u64 v[206:207], v[74:75], 0, 17
	v_accvgpr_write_b32 a87, v145
	v_accvgpr_write_b32 a88, v146
	;; [unrolled: 1-line block ×5, first 2 shown]
	v_mul_lo_u16_e32 v6, 17, v74
	v_mov_b32_e32 v144, v119
	v_accvgpr_write_b32 a116, v82
	v_accvgpr_write_b32 a115, v81
	;; [unrolled: 1-line block ×6, first 2 shown]
	v_lshl_add_u32 v72, v6, 4, v144
	v_mul_u32_u24_e32 v145, 17, v206
	s_barrier
	ds_write_b128 v72, a[126:129]
	ds_write_b128 v72, v[196:199] offset:16
	ds_write_b128 v72, v[212:215] offset:32
	;; [unrolled: 1-line block ×16, first 2 shown]
	s_and_saveexec_b64 s[26:27], vcc
	s_cbranch_execz .LBB0_7
; %bb.6:
	v_mul_f64 v[6:7], v[62:63], s[22:23]
	v_add_f64 v[0:1], v[0:1], v[6:7]
	v_mul_f64 v[6:7], v[46:47], s[18:19]
	v_add_f64 v[6:7], v[50:51], v[6:7]
	v_mul_f64 v[12:13], v[22:23], s[8:9]
	v_accvgpr_read_b32 v50, a194
	v_add_f64 v[12:13], v[32:33], v[12:13]
	v_mul_f64 v[32:33], v[4:5], s[14:15]
	v_accvgpr_read_b32 v51, a195
	v_accvgpr_read_b32 v70, a182
	v_add_f64 v[32:33], v[50:51], v[32:33]
	v_mul_f64 v[50:51], v[58:59], s[16:17]
	v_accvgpr_read_b32 v71, a183
	;; [unrolled: 4-line block ×3, first 2 shown]
	v_add_f64 v[70:71], v[74:75], v[70:71]
	v_accvgpr_read_b32 v74, a158
	v_mul_f64 v[76:77], v[26:27], s[20:21]
	v_accvgpr_read_b32 v75, a159
	v_add_f64 v[76:77], v[74:75], v[76:77]
	v_accvgpr_read_b32 v74, a146
	v_mul_f64 v[78:79], v[10:11], s[12:13]
	v_accvgpr_read_b32 v75, a147
	v_add_f64 v[78:79], v[74:75], v[78:79]
	v_add_f64 v[78:79], v[122:123], v[78:79]
	;; [unrolled: 1-line block ×8, first 2 shown]
	v_mul_f64 v[12:13], v[60:61], s[22:23]
	v_add_f64 v[12:13], v[12:13], -v[68:69]
	v_mul_f64 v[68:69], v[44:45], s[18:19]
	v_add_f64 v[66:67], v[68:69], -v[66:67]
	v_mul_f64 v[68:69], v[20:21], s[8:9]
	v_accvgpr_read_b32 v70, a192
	v_add_f64 v[30:31], v[68:69], -v[30:31]
	v_mul_f64 v[68:69], v[2:3], s[14:15]
	v_accvgpr_read_b32 v71, a193
	v_accvgpr_read_b32 v74, a180
	v_add_f64 v[68:69], v[68:69], -v[70:71]
	v_mul_f64 v[70:71], v[56:57], s[16:17]
	v_accvgpr_read_b32 v75, a181
	v_add_f64 v[70:71], v[70:71], -v[74:75]
	v_accvgpr_read_b32 v74, a168
	v_mul_f64 v[76:77], v[40:41], s[24:25]
	v_accvgpr_read_b32 v75, a169
	v_add_f64 v[76:77], v[76:77], -v[74:75]
	v_accvgpr_read_b32 v74, a156
	;; [unrolled: 4-line block ×3, first 2 shown]
	v_mul_f64 v[50:51], v[8:9], s[8:9]
	v_mul_f64 v[80:81], v[8:9], s[14:15]
	;; [unrolled: 1-line block ×3, first 2 shown]
	v_accvgpr_read_b32 v75, a145
	v_add_f64 v[8:9], v[8:9], -v[74:75]
	v_add_f64 v[8:9], v[120:121], v[8:9]
	v_add_f64 v[8:9], v[78:79], v[8:9]
	;; [unrolled: 1-line block ×6, first 2 shown]
	v_accvgpr_read_b32 v74, a190
	v_add_f64 v[66:67], v[66:67], v[8:9]
	v_mul_f64 v[84:85], v[2:3], s[16:17]
	v_add_f64 v[8:9], v[0:1], v[6:7]
	v_mul_f64 v[0:1], v[2:3], s[22:23]
	v_mul_f64 v[2:3], v[4:5], s[22:23]
	v_accvgpr_read_b32 v75, a191
	v_add_f64 v[2:3], v[74:75], v[2:3]
	v_accvgpr_read_b32 v74, a178
	v_mul_f64 v[30:31], v[58:59], s[18:19]
	v_mul_f64 v[58:59], v[58:59], s[24:25]
	v_accvgpr_read_b32 v75, a179
	v_add_f64 v[58:59], v[74:75], v[58:59]
	v_accvgpr_read_b32 v74, a166
	;; [unrolled: 5-line block ×4, first 2 shown]
	v_mul_f64 v[32:33], v[10:11], s[8:9]
	v_mul_f64 v[10:11], v[10:11], s[14:15]
	v_accvgpr_read_b32 v75, a135
	v_add_f64 v[10:11], v[74:75], v[10:11]
	v_add_f64 v[10:11], v[122:123], v[10:11]
	;; [unrolled: 1-line block ×4, first 2 shown]
	v_mul_f64 v[66:67], v[46:47], s[12:13]
	v_add_f64 v[10:11], v[42:43], v[10:11]
	v_add_f64 v[48:49], v[48:49], v[66:67]
	v_mul_f64 v[66:67], v[22:23], s[16:17]
	v_add_f64 v[10:11], v[58:59], v[10:11]
	v_add_f64 v[28:29], v[28:29], v[66:67]
	;; [unrolled: 1-line block ×4, first 2 shown]
	v_accvgpr_read_b32 v28, a152
	v_mul_f64 v[82:83], v[24:25], s[14:15]
	v_mul_f64 v[24:25], v[24:25], s[18:19]
	v_accvgpr_read_b32 v29, a153
	v_mul_f64 v[66:67], v[20:21], s[20:21]
	v_mul_f64 v[20:21], v[20:21], s[16:17]
	v_add_f64 v[24:25], v[24:25], -v[28:29]
	v_accvgpr_read_b32 v28, a132
	v_add_f64 v[18:19], v[20:21], -v[18:19]
	v_accvgpr_read_b32 v20, a188
	v_accvgpr_read_b32 v29, a133
	;; [unrolled: 1-line block ×4, first 2 shown]
	v_add_f64 v[28:29], v[80:81], -v[28:29]
	v_mul_f64 v[76:77], v[40:41], s[12:13]
	v_mul_f64 v[40:41], v[40:41], s[20:21]
	v_add_f64 v[0:1], v[0:1], -v[20:21]
	v_accvgpr_read_b32 v20, a176
	v_accvgpr_read_b32 v27, a165
	v_add_f64 v[28:29], v[120:121], v[28:29]
	v_mul_f64 v[68:69], v[56:57], s[18:19]
	v_mul_f64 v[56:57], v[56:57], s[24:25]
	v_accvgpr_read_b32 v21, a177
	v_add_f64 v[26:27], v[40:41], -v[26:27]
	v_add_f64 v[24:25], v[24:25], v[28:29]
	v_add_f64 v[20:21], v[56:57], -v[20:21]
	v_add_f64 v[24:25], v[26:27], v[24:25]
	v_add_f64 v[20:21], v[20:21], v[24:25]
	v_mul_f64 v[22:23], v[22:23], s[20:21]
	v_add_f64 v[0:1], v[0:1], v[20:21]
	v_accvgpr_read_b32 v24, a130
	v_add_f64 v[0:1], v[18:19], v[0:1]
	v_add_f64 v[16:17], v[16:17], v[22:23]
	v_accvgpr_read_b32 v18, a186
	v_accvgpr_read_b32 v22, a150
	v_accvgpr_read_b32 v25, a131
	v_mul_f64 v[12:13], v[4:5], s[16:17]
	v_accvgpr_read_b32 v19, a187
	v_accvgpr_read_b32 v20, a162
	;; [unrolled: 1-line block ×3, first 2 shown]
	v_add_f64 v[24:25], v[24:25], v[32:33]
	v_add_f64 v[12:13], v[18:19], v[12:13]
	v_accvgpr_read_b32 v18, a174
	v_accvgpr_read_b32 v21, a163
	v_add_f64 v[22:23], v[22:23], v[78:79]
	v_add_f64 v[24:25], v[122:123], v[24:25]
	v_accvgpr_read_b32 v19, a175
	v_add_f64 v[20:21], v[20:21], v[70:71]
	v_add_f64 v[22:23], v[22:23], v[24:25]
	;; [unrolled: 1-line block ×4, first 2 shown]
	v_accvgpr_read_b32 v22, a148
	v_add_f64 v[18:19], v[18:19], v[20:21]
	v_accvgpr_read_b32 v20, a160
	v_accvgpr_read_b32 v23, a149
	v_add_f64 v[24:25], v[50:51], -v[200:201]
	v_add_f64 v[12:13], v[12:13], v[18:19]
	v_accvgpr_read_b32 v18, a172
	v_accvgpr_read_b32 v21, a161
	v_add_f64 v[22:23], v[82:83], -v[22:23]
	v_add_f64 v[24:25], v[120:121], v[24:25]
	v_mul_f64 v[4:5], v[62:63], s[8:9]
	v_mul_f64 v[86:87], v[44:45], s[22:23]
	;; [unrolled: 1-line block ×3, first 2 shown]
	v_add_f64 v[12:13], v[16:17], v[12:13]
	v_accvgpr_read_b32 v16, a184
	v_accvgpr_read_b32 v19, a173
	v_add_f64 v[20:21], v[76:77], -v[20:21]
	v_add_f64 v[22:23], v[22:23], v[24:25]
	v_add_f64 v[4:5], v[190:191], v[4:5]
	v_mul_f64 v[46:47], v[46:47], s[22:23]
	v_mul_f64 v[88:89], v[60:61], s[24:25]
	;; [unrolled: 1-line block ×3, first 2 shown]
	v_add_f64 v[2:3], v[48:49], v[2:3]
	v_add_f64 v[10:11], v[44:45], -v[38:39]
	v_accvgpr_read_b32 v17, a185
	v_add_f64 v[18:19], v[68:69], -v[18:19]
	v_add_f64 v[20:21], v[20:21], v[22:23]
	v_mul_f64 v[62:63], v[62:63], s[24:25]
	v_add_f64 v[2:3], v[4:5], v[2:3]
	v_add_f64 v[4:5], v[60:61], -v[188:189]
	v_add_f64 v[0:1], v[10:11], v[0:1]
	v_add_f64 v[10:11], v[36:37], v[46:47]
	v_add_f64 v[16:17], v[84:85], -v[16:17]
	v_add_f64 v[18:19], v[18:19], v[20:21]
	v_add_f64 v[0:1], v[4:5], v[0:1]
	v_add_f64 v[4:5], v[54:55], v[62:63]
	v_add_f64 v[10:11], v[10:11], v[12:13]
	v_add_f64 v[14:15], v[66:67], -v[14:15]
	v_add_f64 v[16:17], v[16:17], v[18:19]
	v_add_f64 v[12:13], v[4:5], v[10:11]
	v_add_f64 v[10:11], v[86:87], -v[34:35]
	v_add_f64 v[14:15], v[14:15], v[16:17]
	v_add_f64 v[4:5], v[88:89], -v[52:53]
	v_add_f64 v[10:11], v[10:11], v[14:15]
	v_add_f64 v[10:11], v[4:5], v[10:11]
	;; [unrolled: 1-line block ×34, first 2 shown]
	v_lshl_add_u32 v4, v145, 4, v144
	ds_write_b128 v4, v[14:17]
	ds_write_b128 v4, v[10:13] offset:16
	ds_write_b128 v4, v[0:3] offset:32
	;; [unrolled: 1-line block ×16, first 2 shown]
.LBB0_7:
	s_or_b64 exec, exec, s[26:27]
	v_accvgpr_read_b32 v150, a0
	v_lshlrev_b32_e32 v0, 5, v150
	s_waitcnt lgkmcnt(0)
	s_barrier
	global_load_dwordx4 v[120:123], v0, s[0:1] offset:16
	global_load_dwordx4 v[124:127], v0, s[0:1]
	v_add_u16_e32 v0, 34, v150
	s_movk_i32 s8, 0xf1
	v_mul_lo_u16_sdwa v1, v0, s8 dst_sel:DWORD dst_unused:UNUSED_PAD src0_sel:BYTE_0 src1_sel:DWORD
	v_lshrrev_b16_e32 v1, 12, v1
	v_mul_lo_u16_e32 v1, 17, v1
	v_sub_u16_e32 v73, v0, v1
	v_lshlrev_b16_e32 v0, 1, v73
	v_and_b32_e32 v0, 0xfe, v0
	v_lshlrev_b32_e32 v0, 4, v0
	global_load_dwordx4 v[146:149], v0, s[0:1] offset:16
	global_load_dwordx4 v[152:155], v0, s[0:1]
	v_add_u16_e32 v0, 51, v150
	v_mul_lo_u16_sdwa v1, v0, s8 dst_sel:DWORD dst_unused:UNUSED_PAD src0_sel:BYTE_0 src1_sel:DWORD
	v_lshrrev_b16_e32 v1, 12, v1
	v_mul_lo_u16_e32 v1, 17, v1
	v_sub_u16_e32 v74, v0, v1
	v_lshlrev_b16_e32 v0, 1, v74
	v_and_b32_e32 v0, 0xfe, v0
	v_lshlrev_b32_e32 v0, 4, v0
	global_load_dwordx4 v[156:159], v0, s[0:1] offset:16
	global_load_dwordx4 v[160:163], v0, s[0:1]
	v_add_u16_e32 v0, 0x44, v150
	;; [unrolled: 10-line block ×4, first 2 shown]
	v_mul_lo_u16_sdwa v1, v0, s8 dst_sel:DWORD dst_unused:UNUSED_PAD src0_sel:BYTE_0 src1_sel:DWORD
	v_lshrrev_b16_e32 v1, 12, v1
	v_mul_lo_u16_e32 v1, 17, v1
	v_sub_u16_e32 v128, v0, v1
	v_lshlrev_b16_e32 v0, 1, v128
	v_and_b32_e32 v0, 0xfe, v0
	v_lshlrev_b32_e32 v0, 4, v0
	global_load_dwordx4 v[206:209], v0, s[0:1]
	global_load_dwordx4 v[202:205], v0, s[0:1] offset:16
	ds_read_b128 v[24:27], v118
	ds_read_b128 v[20:23], v118 offset:272
	ds_read_b128 v[28:31], v118 offset:3808
	;; [unrolled: 1-line block ×20, first 2 shown]
	s_mov_b32 s8, 0xe8584caa
	s_mov_b32 s9, 0x3febb67a
	;; [unrolled: 1-line block ×4, first 2 shown]
	s_waitcnt lgkmcnt(0)
	s_barrier
	s_mov_b32 s16, 0xe976ee23
	s_mov_b32 s18, 0xaaaaaaaa
	;; [unrolled: 1-line block ×16, first 2 shown]
	s_waitcnt vmcnt(11)
	v_mul_f64 v[94:95], v[30:31], v[122:123]
	s_waitcnt vmcnt(10)
	v_mul_f64 v[70:71], v[78:79], v[126:127]
	v_mul_f64 v[92:93], v[76:77], v[126:127]
	v_fma_f64 v[70:71], v[76:77], v[124:125], -v[70:71]
	v_fmac_f64_e32 v[92:93], v[78:79], v[124:125]
	v_fma_f64 v[76:77], v[28:29], v[120:121], -v[94:95]
	v_mul_f64 v[78:79], v[28:29], v[122:123]
	v_mul_f64 v[28:29], v[38:39], v[126:127]
	v_fma_f64 v[94:95], v[36:37], v[124:125], -v[28:29]
	v_mul_f64 v[28:29], v[34:35], v[122:123]
	v_fma_f64 v[98:99], v[32:33], v[120:121], -v[28:29]
	s_waitcnt vmcnt(8)
	v_mul_f64 v[28:29], v[42:43], v[154:155]
	v_fma_f64 v[102:103], v[40:41], v[152:153], -v[28:29]
	v_mul_f64 v[28:29], v[46:47], v[148:149]
	v_fma_f64 v[106:107], v[44:45], v[146:147], -v[28:29]
	v_fmac_f64_e32 v[78:79], v[30:31], v[120:121]
	v_mul_f64 v[100:101], v[32:33], v[122:123]
	v_add_f64 v[30:31], v[70:71], v[76:77]
	v_mul_f64 v[96:97], v[36:37], v[126:127]
	v_fmac_f64_e32 v[100:101], v[34:35], v[120:121]
	s_waitcnt vmcnt(6)
	v_mul_f64 v[28:29], v[54:55], v[162:163]
	v_fma_f64 v[110:111], v[52:53], v[160:161], -v[28:29]
	v_mul_f64 v[28:29], v[50:51], v[158:159]
	v_fma_f64 v[114:115], v[48:49], v[156:157], -v[28:29]
	v_add_f64 v[34:35], v[92:93], v[78:79]
	v_fmac_f64_e32 v[96:97], v[38:39], v[124:125]
	v_mul_f64 v[104:105], v[40:41], v[154:155]
	v_add_f64 v[36:37], v[70:71], -v[76:77]
	v_add_f64 v[38:39], v[94:95], v[98:99]
	s_waitcnt vmcnt(4)
	v_mul_f64 v[28:29], v[58:59], v[192:193]
	v_fma_f64 v[168:169], v[56:57], v[190:191], -v[28:29]
	v_mul_f64 v[28:29], v[62:63], v[166:167]
	v_fma_f64 v[172:173], v[60:61], v[164:165], -v[28:29]
	v_fmac_f64_e32 v[104:105], v[42:43], v[152:153]
	v_mul_f64 v[108:109], v[44:45], v[148:149]
	v_add_f64 v[42:43], v[96:97], v[100:101]
	v_fmac_f64_e32 v[108:109], v[46:47], v[146:147]
	v_mul_f64 v[116:117], v[48:49], v[158:159]
	s_waitcnt vmcnt(2)
	v_mul_f64 v[28:29], v[82:83], v[200:201]
	v_fma_f64 v[176:177], v[80:81], v[198:199], -v[28:29]
	v_mul_f64 v[178:179], v[80:81], v[200:201]
	v_mul_f64 v[28:29], v[68:69], v[196:197]
	v_fmac_f64_e32 v[178:179], v[82:83], v[198:199]
	v_fma_f64 v[82:83], v[66:67], v[194:195], -v[28:29]
	v_add_f64 v[44:45], v[94:95], -v[98:99]
	v_add_f64 v[46:47], v[102:103], v[106:107]
	s_waitcnt vmcnt(1)
	v_mul_f64 v[28:29], v[86:87], v[208:209]
	v_fma_f64 v[182:183], v[84:85], v[206:207], -v[28:29]
	s_waitcnt vmcnt(0)
	v_mul_f64 v[28:29], v[90:91], v[204:205]
	v_fma_f64 v[186:187], v[88:89], v[202:203], -v[28:29]
	v_add_f64 v[28:29], v[24:25], v[70:71]
	v_fmac_f64_e32 v[24:25], -0.5, v[30:31]
	v_add_f64 v[30:31], v[92:93], -v[78:79]
	v_fma_f64 v[32:33], s[8:9], v[30:31], v[24:25]
	v_fmac_f64_e32 v[24:25], s[12:13], v[30:31]
	v_add_f64 v[30:31], v[26:27], v[92:93]
	v_fmac_f64_e32 v[26:27], -0.5, v[34:35]
	v_fma_f64 v[34:35], s[12:13], v[36:37], v[26:27]
	v_fmac_f64_e32 v[26:27], s[8:9], v[36:37]
	v_add_f64 v[36:37], v[20:21], v[94:95]
	v_fmac_f64_e32 v[20:21], -0.5, v[38:39]
	v_add_f64 v[38:39], v[96:97], -v[100:101]
	v_fma_f64 v[40:41], s[8:9], v[38:39], v[20:21]
	v_fmac_f64_e32 v[20:21], s[12:13], v[38:39]
	v_add_f64 v[38:39], v[22:23], v[96:97]
	v_fmac_f64_e32 v[22:23], -0.5, v[42:43]
	v_mul_f64 v[112:113], v[52:53], v[162:163]
	v_fmac_f64_e32 v[116:117], v[50:51], v[156:157]
	v_fma_f64 v[42:43], s[12:13], v[44:45], v[22:23]
	v_fmac_f64_e32 v[22:23], s[8:9], v[44:45]
	v_add_f64 v[44:45], v[16:17], v[102:103]
	v_fmac_f64_e32 v[16:17], -0.5, v[46:47]
	v_add_f64 v[46:47], v[104:105], -v[108:109]
	v_add_f64 v[50:51], v[104:105], v[108:109]
	v_fmac_f64_e32 v[112:113], v[54:55], v[160:161]
	v_mul_f64 v[170:171], v[56:57], v[192:193]
	v_fma_f64 v[48:49], s[8:9], v[46:47], v[16:17]
	v_fmac_f64_e32 v[16:17], s[12:13], v[46:47]
	v_add_f64 v[46:47], v[18:19], v[104:105]
	v_fmac_f64_e32 v[18:19], -0.5, v[50:51]
	v_add_f64 v[52:53], v[102:103], -v[106:107]
	v_add_f64 v[54:55], v[110:111], v[114:115]
	v_fmac_f64_e32 v[170:171], v[58:59], v[190:191]
	v_mul_f64 v[174:175], v[60:61], v[166:167]
	;; [unrolled: 8-line block ×3, first 2 shown]
	v_fma_f64 v[56:57], s[8:9], v[54:55], v[12:13]
	v_fmac_f64_e32 v[12:13], s[12:13], v[54:55]
	v_add_f64 v[54:55], v[14:15], v[112:113]
	v_fmac_f64_e32 v[14:15], -0.5, v[58:59]
	v_add_f64 v[60:61], v[110:111], -v[114:115]
	v_add_f64 v[62:63], v[168:169], v[172:173]
	v_fmac_f64_e32 v[180:181], v[68:69], v[194:195]
	v_fma_f64 v[58:59], s[12:13], v[60:61], v[14:15]
	v_fmac_f64_e32 v[14:15], s[8:9], v[60:61]
	v_add_f64 v[60:61], v[8:9], v[168:169]
	v_fmac_f64_e32 v[8:9], -0.5, v[62:63]
	v_add_f64 v[62:63], v[170:171], -v[174:175]
	v_add_f64 v[68:69], v[170:171], v[174:175]
	v_fma_f64 v[66:67], s[8:9], v[62:63], v[8:9]
	v_fmac_f64_e32 v[8:9], s[12:13], v[62:63]
	v_add_f64 v[62:63], v[10:11], v[170:171]
	v_fmac_f64_e32 v[10:11], -0.5, v[68:69]
	v_add_f64 v[70:71], v[168:169], -v[172:173]
	v_fma_f64 v[68:69], s[12:13], v[70:71], v[10:11]
	v_fmac_f64_e32 v[10:11], s[8:9], v[70:71]
	v_add_f64 v[70:71], v[4:5], v[176:177]
	v_add_f64 v[28:29], v[28:29], v[76:77]
	;; [unrolled: 1-line block ×7, first 2 shown]
	v_fmac_f64_e32 v[4:5], -0.5, v[70:71]
	v_add_f64 v[70:71], v[178:179], -v[180:181]
	ds_write_b128 v118, v[28:31]
	ds_write_b128 v118, v[32:35] offset:272
	ds_write_b128 v118, v[24:27] offset:544
	ds_write_b128 v118, v[36:39] offset:816
	ds_write_b128 v118, v[40:43] offset:1088
	ds_write_b128 v118, v[20:23] offset:1360
	v_and_b32_e32 v20, 0xff, v73
	v_add_f64 v[44:45], v[44:45], v[106:107]
	v_add_f64 v[46:47], v[46:47], v[108:109]
	v_fma_f64 v[80:81], s[8:9], v[70:71], v[4:5]
	v_fmac_f64_e32 v[4:5], s[12:13], v[70:71]
	v_add_f64 v[70:71], v[6:7], v[178:179]
	v_lshl_add_u32 v151, v20, 4, v144
	v_add_f64 v[78:79], v[70:71], v[180:181]
	v_add_f64 v[70:71], v[178:179], v[180:181]
	ds_write_b128 v151, v[44:47] offset:1632
	ds_write_b128 v151, v[48:51] offset:1904
	;; [unrolled: 1-line block ×3, first 2 shown]
	v_and_b32_e32 v16, 0xff, v74
	v_add_f64 v[52:53], v[52:53], v[114:115]
	v_add_f64 v[54:55], v[54:55], v[116:117]
	v_fmac_f64_e32 v[6:7], -0.5, v[70:71]
	v_add_f64 v[70:71], v[176:177], -v[82:83]
	v_lshl_add_u32 v168, v16, 4, v144
	v_mul_f64 v[184:185], v[84:85], v[208:209]
	v_mul_f64 v[188:189], v[88:89], v[204:205]
	v_fma_f64 v[82:83], s[12:13], v[70:71], v[6:7]
	v_fmac_f64_e32 v[6:7], s[8:9], v[70:71]
	v_add_f64 v[70:71], v[0:1], v[182:183]
	ds_write_b128 v168, v[52:55] offset:2448
	ds_write_b128 v168, v[56:59] offset:2720
	;; [unrolled: 1-line block ×3, first 2 shown]
	v_and_b32_e32 v12, 0xff, v75
	v_fmac_f64_e32 v[184:185], v[86:87], v[206:207]
	v_fmac_f64_e32 v[188:189], v[90:91], v[202:203]
	v_add_f64 v[60:61], v[60:61], v[172:173]
	v_add_f64 v[62:63], v[62:63], v[174:175]
	;; [unrolled: 1-line block ×4, first 2 shown]
	v_lshl_add_u32 v169, v12, 4, v144
	v_fmac_f64_e32 v[0:1], -0.5, v[70:71]
	v_add_f64 v[70:71], v[184:185], -v[188:189]
	ds_write_b128 v169, v[60:63] offset:3264
	ds_write_b128 v169, v[66:69] offset:3536
	;; [unrolled: 1-line block ×3, first 2 shown]
	v_and_b32_e32 v8, 0xff, v119
	v_fma_f64 v[88:89], s[8:9], v[70:71], v[0:1]
	v_fmac_f64_e32 v[0:1], s[12:13], v[70:71]
	v_add_f64 v[70:71], v[2:3], v[184:185]
	v_lshl_add_u32 v119, v8, 4, v144
	v_add_f64 v[86:87], v[70:71], v[188:189]
	v_add_f64 v[70:71], v[184:185], v[188:189]
	ds_write_b128 v119, v[76:79] offset:4080
	ds_write_b128 v119, v[80:83] offset:4352
	;; [unrolled: 1-line block ×3, first 2 shown]
	v_and_b32_e32 v4, 0xff, v128
	v_fmac_f64_e32 v[2:3], -0.5, v[70:71]
	v_add_f64 v[70:71], v[182:183], -v[186:187]
	v_lshl_add_u32 v170, v4, 4, v144
	v_fma_f64 v[90:91], s[12:13], v[70:71], v[2:3]
	v_fmac_f64_e32 v[2:3], s[8:9], v[70:71]
	ds_write_b128 v170, v[84:87] offset:4896
	ds_write_b128 v170, v[88:91] offset:5168
	;; [unrolled: 1-line block ×3, first 2 shown]
	s_movk_i32 s8, 0x60
	v_mov_b64_e32 v[0:1], s[0:1]
	v_mad_u64_u32 v[0:1], s[0:1], v150, s8, v[0:1]
	s_waitcnt lgkmcnt(0)
	s_barrier
	global_load_dwordx4 v[184:187], v[0:1], off offset:544
	global_load_dwordx4 v[180:183], v[0:1], off offset:560
	;; [unrolled: 1-line block ×16, first 2 shown]
	ds_read_b128 v[4:7], v118
	ds_read_b128 v[8:11], v118 offset:272
	ds_read_b128 v[12:15], v118 offset:1632
	;; [unrolled: 1-line block ×5, first 2 shown]
	global_load_dwordx4 v[232:235], v[0:1], off offset:3888
	global_load_dwordx4 v[236:239], v[0:1], off offset:3872
	ds_read_b128 v[28:31], v118 offset:4896
	ds_read_b128 v[32:35], v118 offset:5168
	;; [unrolled: 1-line block ×15, first 2 shown]
	s_mov_b32 s12, 0x37e14327
	s_mov_b32 s0, 0x36b3c0b5
	;; [unrolled: 1-line block ×4, first 2 shown]
	s_add_u32 s8, s2, 0x1650
	s_addc_u32 s9, s3, 0
	v_lshl_add_u32 v73, v65, 4, v64
	s_waitcnt vmcnt(17) lgkmcnt(12)
	v_mul_f64 v[70:71], v[38:39], v[186:187]
	v_fma_f64 v[70:71], v[36:37], v[184:185], -v[70:71]
	v_mul_f64 v[92:93], v[36:37], v[186:187]
	s_waitcnt vmcnt(16)
	v_mul_f64 v[36:37], v[14:15], v[182:183]
	v_fma_f64 v[94:95], v[12:13], v[180:181], -v[36:37]
	s_waitcnt vmcnt(14)
	v_mul_f64 v[36:37], v[22:23], v[174:175]
	v_fma_f64 v[98:99], v[20:21], v[172:173], -v[36:37]
	v_mul_f64 v[20:21], v[20:21], v[174:175]
	v_fmac_f64_e32 v[20:21], v[22:23], v[172:173]
	s_waitcnt vmcnt(13) lgkmcnt(4)
	v_mul_f64 v[22:23], v[68:69], v[216:217]
	v_fma_f64 v[22:23], v[66:67], v[214:215], -v[22:23]
	v_mul_f64 v[66:67], v[66:67], v[216:217]
	s_waitcnt vmcnt(12)
	v_mul_f64 v[36:37], v[30:31], v[212:213]
	v_fmac_f64_e32 v[66:67], v[68:69], v[214:215]
	v_fma_f64 v[68:69], v[28:29], v[210:211], -v[36:37]
	v_mul_f64 v[28:29], v[28:29], v[212:213]
	v_fmac_f64_e32 v[28:29], v[30:31], v[210:211]
	s_waitcnt vmcnt(11)
	v_mul_f64 v[30:31], v[42:43], v[106:107]
	v_fma_f64 v[100:101], v[40:41], v[104:105], -v[30:31]
	v_mul_f64 v[102:103], v[40:41], v[106:107]
	v_accvgpr_write_b32 a157, v107
	s_waitcnt vmcnt(10)
	v_mul_f64 v[30:31], v[18:19], v[110:111]
	v_accvgpr_write_b32 a156, v106
	v_accvgpr_write_b32 a155, v105
	v_accvgpr_write_b32 a154, v104
	v_fmac_f64_e32 v[102:103], v[42:43], v[104:105]
	v_fma_f64 v[104:105], v[16:17], v[108:109], -v[30:31]
	v_mul_f64 v[106:107], v[16:17], v[110:111]
	v_accvgpr_write_b32 a153, v111
	s_waitcnt vmcnt(9)
	v_mul_f64 v[16:17], v[58:59], v[114:115]
	v_accvgpr_write_b32 a152, v110
	v_accvgpr_write_b32 a151, v109
	v_accvgpr_write_b32 a150, v108
	v_fmac_f64_e32 v[106:107], v[18:19], v[108:109]
	;; [unrolled: 9-line block ×3, first 2 shown]
	v_fma_f64 v[112:113], v[24:25], v[128:129], -v[16:17]
	s_waitcnt vmcnt(7) lgkmcnt(2)
	v_mul_f64 v[16:17], v[82:83], v[138:139]
	v_fma_f64 v[116:117], v[80:81], v[136:137], -v[16:17]
	v_mul_f64 v[80:81], v[80:81], v[138:139]
	s_waitcnt vmcnt(6)
	v_mul_f64 v[16:17], v[34:35], v[134:135]
	v_fmac_f64_e32 v[80:81], v[82:83], v[136:137]
	v_fma_f64 v[82:83], v[32:33], v[132:133], -v[16:17]
	s_waitcnt vmcnt(5)
	v_mul_f64 v[16:17], v[46:47], v[230:231]
	v_fma_f64 v[36:37], v[44:45], v[228:229], -v[16:17]
	s_waitcnt vmcnt(4)
	v_mul_f64 v[16:17], v[54:55], v[226:227]
	v_mul_f64 v[12:13], v[12:13], v[182:183]
	v_fma_f64 v[40:41], v[52:53], v[224:225], -v[16:17]
	s_waitcnt vmcnt(2)
	v_mul_f64 v[16:17], v[62:63], v[222:223]
	v_fmac_f64_e32 v[92:93], v[38:39], v[184:185]
	v_fmac_f64_e32 v[12:13], v[14:15], v[180:181]
	v_mul_f64 v[14:15], v[50:51], v[178:179]
	v_mul_f64 v[38:39], v[44:45], v[230:231]
	v_fma_f64 v[44:45], v[60:61], v[220:221], -v[16:17]
	v_mul_f64 v[16:17], v[78:79], v[142:143]
	v_fma_f64 v[14:15], v[48:49], v[176:177], -v[14:15]
	;; [unrolled: 2-line block ×3, first 2 shown]
	s_waitcnt vmcnt(0) lgkmcnt(1)
	v_mul_f64 v[16:17], v[86:87], v[238:239]
	v_mul_f64 v[114:115], v[24:25], v[130:131]
	;; [unrolled: 1-line block ×3, first 2 shown]
	v_fma_f64 v[52:53], v[84:85], v[236:237], -v[16:17]
	s_waitcnt lgkmcnt(0)
	v_mul_f64 v[16:17], v[90:91], v[234:235]
	v_fmac_f64_e32 v[114:115], v[26:27], v[128:129]
	v_fma_f64 v[56:57], v[88:89], v[232:233], -v[16:17]
	v_add_f64 v[16:17], v[70:71], v[68:69]
	v_add_f64 v[18:19], v[92:93], v[28:29]
	v_add_f64 v[26:27], v[92:93], -v[28:29]
	v_add_f64 v[28:29], v[94:95], v[22:23]
	v_fmac_f64_e32 v[96:97], v[50:51], v[176:177]
	v_mul_f64 v[240:241], v[32:33], v[134:135]
	v_fmac_f64_e32 v[38:39], v[46:47], v[228:229]
	v_mul_f64 v[46:47], v[60:61], v[222:223]
	v_add_f64 v[30:31], v[12:13], v[66:67]
	v_add_f64 v[32:33], v[14:15], v[98:99]
	;; [unrolled: 1-line block ×3, first 2 shown]
	v_fmac_f64_e32 v[240:241], v[34:35], v[132:133]
	v_fmac_f64_e32 v[46:47], v[62:63], v[220:221]
	v_add_f64 v[12:13], v[12:13], -v[66:67]
	v_add_f64 v[34:35], v[96:97], v[20:21]
	v_add_f64 v[62:63], v[30:31], v[18:19]
	v_add_f64 v[66:67], v[28:29], -v[16:17]
	v_add_f64 v[16:17], v[16:17], -v[32:33]
	;; [unrolled: 1-line block ×3, first 2 shown]
	v_add_f64 v[32:33], v[32:33], v[60:61]
	v_fmac_f64_e32 v[42:43], v[54:55], v[224:225]
	v_mul_f64 v[50:51], v[76:77], v[142:143]
	v_mul_f64 v[54:55], v[84:85], v[238:239]
	v_add_f64 v[24:25], v[70:71], -v[68:69]
	v_add_f64 v[22:23], v[94:95], -v[22:23]
	;; [unrolled: 1-line block ×7, first 2 shown]
	v_add_f64 v[34:35], v[34:35], v[62:63]
	v_add_f64 v[4:5], v[4:5], v[32:33]
	v_fmac_f64_e32 v[50:51], v[78:79], v[140:141]
	v_fmac_f64_e32 v[54:55], v[86:87], v[236:237]
	v_add_f64 v[70:71], v[14:15], v[22:23]
	v_add_f64 v[76:77], v[20:21], v[12:13]
	v_add_f64 v[78:79], v[14:15], -v[22:23]
	v_add_f64 v[84:85], v[20:21], -v[12:13]
	v_add_f64 v[6:7], v[6:7], v[34:35]
	v_mov_b64_e32 v[86:87], v[4:5]
	v_add_f64 v[14:15], v[24:25], -v[14:15]
	v_add_f64 v[20:21], v[26:27], -v[20:21]
	;; [unrolled: 1-line block ×4, first 2 shown]
	v_add_f64 v[24:25], v[70:71], v[24:25]
	v_add_f64 v[26:27], v[76:77], v[26:27]
	v_mul_f64 v[16:17], v[16:17], s[12:13]
	v_mul_f64 v[18:19], v[18:19], s[12:13]
	;; [unrolled: 1-line block ×6, first 2 shown]
	v_fmac_f64_e32 v[86:87], s[18:19], v[32:33]
	v_mov_b64_e32 v[32:33], v[6:7]
	v_mul_f64 v[78:79], v[22:23], s[14:15]
	v_mul_f64 v[84:85], v[12:13], s[14:15]
	v_fmac_f64_e32 v[32:33], s[18:19], v[34:35]
	v_fma_f64 v[34:35], v[66:67], s[20:21], -v[60:61]
	v_fma_f64 v[60:61], v[68:69], s[20:21], -v[62:63]
	;; [unrolled: 1-line block ×3, first 2 shown]
	v_fmac_f64_e32 v[16:17], s[0:1], v[28:29]
	v_fma_f64 v[28:29], v[68:69], s[22:23], -v[18:19]
	v_fmac_f64_e32 v[18:19], s[0:1], v[30:31]
	v_fma_f64 v[30:31], v[22:23], s[14:15], -v[70:71]
	;; [unrolled: 2-line block ×3, first 2 shown]
	v_mul_f64 v[58:59], v[88:89], v[234:235]
	v_fmac_f64_e32 v[76:77], s[24:25], v[20:21]
	v_fma_f64 v[68:69], v[14:15], s[28:29], -v[78:79]
	v_fma_f64 v[78:79], v[20:21], s[28:29], -v[84:85]
	v_add_f64 v[88:89], v[18:19], v[32:33]
	v_add_f64 v[34:35], v[34:35], v[86:87]
	;; [unrolled: 1-line block ×3, first 2 shown]
	v_fmac_f64_e32 v[70:71], s[26:27], v[24:25]
	v_fmac_f64_e32 v[30:31], s[26:27], v[24:25]
	v_fmac_f64_e32 v[66:67], s[26:27], v[26:27]
	v_add_f64 v[84:85], v[16:17], v[86:87]
	v_add_f64 v[62:63], v[62:63], v[86:87]
	;; [unrolled: 1-line block ×3, first 2 shown]
	v_fmac_f64_e32 v[76:77], s[26:27], v[26:27]
	v_fmac_f64_e32 v[68:69], s[26:27], v[24:25]
	;; [unrolled: 1-line block ×3, first 2 shown]
	v_add_f64 v[14:15], v[88:89], -v[70:71]
	v_add_f64 v[20:21], v[34:35], -v[66:67]
	v_add_f64 v[22:23], v[30:31], v[60:61]
	v_add_f64 v[24:25], v[66:67], v[34:35]
	v_add_f64 v[26:27], v[60:61], -v[30:31]
	v_add_f64 v[34:35], v[70:71], v[88:89]
	v_add_f64 v[60:61], v[100:101], v[82:83]
	;; [unrolled: 1-line block ×3, first 2 shown]
	v_fmac_f64_e32 v[58:59], v[90:91], v[232:233]
	v_add_f64 v[12:13], v[76:77], v[84:85]
	v_add_f64 v[16:17], v[78:79], v[62:63]
	v_add_f64 v[18:19], v[32:33], -v[68:69]
	v_add_f64 v[28:29], v[62:63], -v[78:79]
	v_add_f64 v[30:31], v[68:69], v[32:33]
	v_add_f64 v[32:33], v[84:85], -v[76:77]
	v_add_f64 v[62:63], v[102:103], v[240:241]
	;; [unrolled: 2-line block ×3, first 2 shown]
	v_add_f64 v[82:83], v[108:109], v[112:113]
	v_add_f64 v[90:91], v[70:71], v[60:61]
	;; [unrolled: 1-line block ×4, first 2 shown]
	v_add_f64 v[94:95], v[70:71], -v[60:61]
	v_add_f64 v[60:61], v[60:61], -v[82:83]
	;; [unrolled: 1-line block ×3, first 2 shown]
	v_add_f64 v[82:83], v[82:83], v[90:91]
	v_add_f64 v[78:79], v[104:105], -v[116:117]
	v_add_f64 v[86:87], v[112:113], -v[108:109]
	;; [unrolled: 1-line block ×5, first 2 shown]
	v_add_f64 v[84:85], v[84:85], v[92:93]
	v_add_f64 v[8:9], v[8:9], v[82:83]
	v_add_f64 v[68:69], v[102:103], -v[240:241]
	v_add_f64 v[80:81], v[106:107], -v[80:81]
	v_add_f64 v[88:89], v[114:115], -v[110:111]
	v_add_f64 v[98:99], v[86:87], v[78:79]
	v_add_f64 v[102:103], v[86:87], -v[78:79]
	v_add_f64 v[78:79], v[78:79], -v[66:67]
	v_add_f64 v[10:11], v[10:11], v[84:85]
	v_mov_b64_e32 v[106:107], v[8:9]
	v_add_f64 v[100:101], v[88:89], v[80:81]
	v_add_f64 v[104:105], v[88:89], -v[80:81]
	v_add_f64 v[86:87], v[66:67], -v[86:87]
	;; [unrolled: 1-line block ×3, first 2 shown]
	v_add_f64 v[66:67], v[98:99], v[66:67]
	v_mul_f64 v[60:61], v[60:61], s[12:13]
	v_mul_f64 v[62:63], v[62:63], s[12:13]
	;; [unrolled: 1-line block ×6, first 2 shown]
	v_fmac_f64_e32 v[106:107], s[18:19], v[82:83]
	v_mov_b64_e32 v[82:83], v[10:11]
	v_add_f64 v[88:89], v[68:69], -v[88:89]
	v_add_f64 v[68:69], v[100:101], v[68:69]
	v_mul_f64 v[100:101], v[104:105], s[16:17]
	v_mul_f64 v[104:105], v[80:81], s[14:15]
	v_fmac_f64_e32 v[82:83], s[18:19], v[84:85]
	v_fma_f64 v[84:85], v[94:95], s[20:21], -v[90:91]
	v_fma_f64 v[90:91], v[96:97], s[20:21], -v[92:93]
	;; [unrolled: 1-line block ×3, first 2 shown]
	v_fmac_f64_e32 v[60:61], s[0:1], v[70:71]
	v_fma_f64 v[70:71], v[96:97], s[22:23], -v[62:63]
	v_fma_f64 v[94:95], v[78:79], s[14:15], -v[98:99]
	v_fmac_f64_e32 v[98:99], s[24:25], v[86:87]
	v_fma_f64 v[86:87], v[86:87], s[28:29], -v[102:103]
	v_fma_f64 v[80:81], v[80:81], s[14:15], -v[100:101]
	v_fmac_f64_e32 v[100:101], s[24:25], v[88:89]
	v_fma_f64 v[88:89], v[88:89], s[28:29], -v[104:105]
	v_add_f64 v[70:71], v[70:71], v[82:83]
	v_fmac_f64_e32 v[86:87], s[26:27], v[66:67]
	v_add_f64 v[84:85], v[84:85], v[106:107]
	v_add_f64 v[92:93], v[92:93], v[106:107]
	v_fmac_f64_e32 v[100:101], s[26:27], v[68:69]
	v_fmac_f64_e32 v[80:81], s[26:27], v[68:69]
	;; [unrolled: 1-line block ×3, first 2 shown]
	v_add_f64 v[68:69], v[70:71], -v[86:87]
	v_add_f64 v[86:87], v[86:87], v[70:71]
	v_add_f64 v[70:71], v[36:37], v[56:57]
	v_add_f64 v[36:37], v[36:37], -v[56:57]
	v_add_f64 v[56:57], v[40:41], v[52:53]
	v_fmac_f64_e32 v[62:63], s[0:1], v[76:77]
	v_fmac_f64_e32 v[98:99], s[26:27], v[66:67]
	;; [unrolled: 1-line block ×3, first 2 shown]
	v_add_f64 v[66:67], v[88:89], v[92:93]
	v_add_f64 v[76:77], v[84:85], -v[80:81]
	v_add_f64 v[80:81], v[80:81], v[84:85]
	v_add_f64 v[84:85], v[92:93], -v[88:89]
	;; [unrolled: 2-line block ×7, first 2 shown]
	v_add_f64 v[50:51], v[58:59], v[92:93]
	v_add_f64 v[48:49], v[52:53], v[48:49]
	;; [unrolled: 1-line block ×8, first 2 shown]
	v_add_f64 v[62:63], v[102:103], -v[98:99]
	v_add_f64 v[78:79], v[94:95], v[90:91]
	v_add_f64 v[82:83], v[90:91], -v[94:95]
	v_add_f64 v[88:89], v[96:97], -v[100:101]
	v_add_f64 v[90:91], v[98:99], v[102:103]
	v_add_f64 v[94:95], v[56:57], -v[70:71]
	v_add_f64 v[96:97], v[58:59], -v[92:93]
	;; [unrolled: 1-line block ×6, first 2 shown]
	v_add_f64 v[98:99], v[44:45], v[40:41]
	v_add_f64 v[100:101], v[46:47], v[42:43]
	v_add_f64 v[102:103], v[44:45], -v[40:41]
	v_add_f64 v[104:105], v[46:47], -v[42:43]
	;; [unrolled: 1-line block ×4, first 2 shown]
	v_add_f64 v[2:3], v[2:3], v[50:51]
	v_mov_b64_e32 v[106:107], v[0:1]
	v_add_f64 v[44:45], v[36:37], -v[44:45]
	v_add_f64 v[46:47], v[38:39], -v[46:47]
	v_add_f64 v[36:37], v[98:99], v[36:37]
	v_add_f64 v[38:39], v[100:101], v[38:39]
	v_mul_f64 v[52:53], v[70:71], s[12:13]
	v_mul_f64 v[54:55], v[92:93], s[12:13]
	;; [unrolled: 1-line block ×8, first 2 shown]
	v_fmac_f64_e32 v[106:107], s[18:19], v[48:49]
	v_mov_b64_e32 v[48:49], v[2:3]
	v_fmac_f64_e32 v[48:49], s[18:19], v[50:51]
	v_fma_f64 v[50:51], s[0:1], v[56:57], v[52:53]
	v_fma_f64 v[56:57], v[94:95], s[20:21], -v[70:71]
	v_fma_f64 v[70:71], v[96:97], s[20:21], -v[92:93]
	;; [unrolled: 1-line block ×4, first 2 shown]
	v_fmac_f64_e32 v[54:55], s[0:1], v[58:59]
	v_fma_f64 v[58:59], s[24:25], v[44:45], v[98:99]
	v_fma_f64 v[96:97], v[42:43], s[14:15], -v[100:101]
	v_fmac_f64_e32 v[100:101], s[24:25], v[46:47]
	v_fma_f64 v[44:45], v[44:45], s[28:29], -v[102:103]
	v_fma_f64 v[46:47], v[46:47], s[28:29], -v[104:105]
	v_fma_f64 v[94:95], v[40:41], s[14:15], -v[98:99]
	v_add_f64 v[50:51], v[50:51], v[106:107]
	v_add_f64 v[54:55], v[54:55], v[48:49]
	;; [unrolled: 1-line block ×5, first 2 shown]
	v_fmac_f64_e32 v[58:59], s[26:27], v[36:37]
	v_fmac_f64_e32 v[100:101], s[26:27], v[38:39]
	;; [unrolled: 1-line block ×4, first 2 shown]
	v_add_f64 v[56:57], v[56:57], v[106:107]
	v_fmac_f64_e32 v[94:95], s[26:27], v[36:37]
	v_fmac_f64_e32 v[96:97], s[26:27], v[38:39]
	v_add_f64 v[36:37], v[100:101], v[50:51]
	v_add_f64 v[38:39], v[54:55], -v[58:59]
	v_add_f64 v[40:41], v[46:47], v[52:53]
	v_add_f64 v[42:43], v[48:49], -v[44:45]
	v_add_f64 v[250:251], v[44:45], v[48:49]
	v_lshlrev_b32_e32 v44, 4, v150
	v_add_f64 v[240:241], v[56:57], -v[96:97]
	v_add_f64 v[242:243], v[94:95], v[70:71]
	v_add_f64 v[244:245], v[96:97], v[56:57]
	v_add_f64 v[246:247], v[70:71], -v[94:95]
	v_add_f64 v[248:249], v[52:53], -v[46:47]
	;; [unrolled: 1-line block ×3, first 2 shown]
	v_add_f64 v[254:255], v[58:59], v[54:55]
	ds_write_b128 v118, v[4:7]
	ds_write_b128 v118, v[12:15] offset:816
	ds_write_b128 v118, v[16:19] offset:1632
	ds_write_b128 v118, v[20:23] offset:2448
	ds_write_b128 v118, v[24:27] offset:3264
	ds_write_b128 v118, v[28:31] offset:4080
	ds_write_b128 v118, v[32:35] offset:4896
	ds_write_b128 v118, v[8:11] offset:272
	ds_write_b128 v73, v[60:63] offset:1088
	ds_write_b128 v73, v[66:69] offset:1904
	ds_write_b128 v73, v[76:79] offset:2720
	ds_write_b128 v73, v[80:83] offset:3536
	ds_write_b128 v73, v[84:87] offset:4352
	ds_write_b128 v73, v[88:91] offset:5168
	ds_write_b128 v118, v[0:3] offset:544
	ds_write_b128 v73, v[36:39] offset:1360
	ds_write_b128 v73, v[40:43] offset:2176
	ds_write_b128 v73, v[240:243] offset:2992
	ds_write_b128 v73, v[244:247] offset:3808
	ds_write_b128 v73, v[248:251] offset:4624
	ds_write_b128 v73, v[252:255] offset:5440
	s_waitcnt lgkmcnt(0)
	s_barrier
	global_load_dwordx4 v[12:15], v44, s[8:9]
	global_load_dwordx4 v[8:11], v44, s[8:9] offset:336
	global_load_dwordx4 v[4:7], v44, s[8:9] offset:672
	;; [unrolled: 1-line block ×11, first 2 shown]
	ds_read_b128 v[52:55], v118
	ds_read_b128 v[56:59], v118 offset:336
	v_mov_b32_e32 v45, 0
	global_load_dwordx4 v[60:63], v44, s[8:9] offset:4032
	v_lshl_add_u64 v[46:47], s[8:9], 0, v[44:45]
	s_movk_i32 s0, 0x1000
	v_add_co_u32_e64 v44, s[0:1], s0, v46
	v_accvgpr_write_b32 a145, v131
	s_nop 0
	v_addc_co_u32_e64 v45, s[0:1], 0, v47, s[0:1]
	global_load_dwordx4 v[64:67], v[44:45], off offset:272
	v_accvgpr_write_b32 a165, v139
	v_accvgpr_write_b32 a161, v135
	;; [unrolled: 1-line block ×15, first 2 shown]
	s_waitcnt vmcnt(13) lgkmcnt(1)
	v_mul_f64 v[68:69], v[54:55], v[14:15]
	v_mul_f64 v[70:71], v[52:53], v[14:15]
	v_fma_f64 v[68:69], v[52:53], v[12:13], -v[68:69]
	v_fmac_f64_e32 v[70:71], v[54:55], v[12:13]
	global_load_dwordx4 v[52:55], v[44:45], off offset:608
	ds_write_b128 v118, v[68:71]
	ds_read_b128 v[68:71], v118 offset:672
	s_waitcnt vmcnt(13) lgkmcnt(2)
	v_mul_f64 v[12:13], v[58:59], v[10:11]
	v_mul_f64 v[14:15], v[56:57], v[10:11]
	v_fma_f64 v[12:13], v[56:57], v[8:9], -v[12:13]
	v_fmac_f64_e32 v[14:15], v[58:59], v[8:9]
	ds_write_b128 v118, v[12:15] offset:336
	ds_read_b128 v[12:15], v118 offset:1008
	global_load_dwordx4 v[8:11], v[44:45], off offset:944
	s_waitcnt vmcnt(13) lgkmcnt(2)
	v_mul_f64 v[56:57], v[70:71], v[6:7]
	v_mul_f64 v[58:59], v[68:69], v[6:7]
	v_fma_f64 v[56:57], v[68:69], v[4:5], -v[56:57]
	v_fmac_f64_e32 v[58:59], v[70:71], v[4:5]
	global_load_dwordx4 v[4:7], v[44:45], off offset:1280
	ds_read_b128 v[68:71], v118 offset:1344
	ds_write_b128 v118, v[56:59] offset:672
	s_waitcnt vmcnt(13) lgkmcnt(2)
	v_mul_f64 v[56:57], v[14:15], v[2:3]
	v_mul_f64 v[58:59], v[12:13], v[2:3]
	v_fma_f64 v[56:57], v[12:13], v[0:1], -v[56:57]
	v_fmac_f64_e32 v[58:59], v[14:15], v[0:1]
	ds_read_b128 v[0:3], v118 offset:1680
	s_waitcnt vmcnt(12) lgkmcnt(2)
	v_mul_f64 v[12:13], v[70:71], v[18:19]
	v_mul_f64 v[14:15], v[68:69], v[18:19]
	v_fma_f64 v[12:13], v[68:69], v[16:17], -v[12:13]
	v_fmac_f64_e32 v[14:15], v[70:71], v[16:17]
	ds_read_b128 v[16:19], v118 offset:2016
	ds_write_b128 v118, v[12:15] offset:1344
	s_waitcnt vmcnt(11) lgkmcnt(2)
	v_mul_f64 v[12:13], v[2:3], v[22:23]
	v_mul_f64 v[14:15], v[0:1], v[22:23]
	v_fma_f64 v[12:13], v[0:1], v[20:21], -v[12:13]
	v_fmac_f64_e32 v[14:15], v[2:3], v[20:21]
	ds_read_b128 v[0:3], v118 offset:2352
	ds_write_b128 v118, v[12:15] offset:1680
	;; [unrolled: 7-line block ×10, first 2 shown]
	s_waitcnt vmcnt(2) lgkmcnt(3)
	v_mul_f64 v[12:13], v[18:19], v[54:55]
	v_mul_f64 v[14:15], v[16:17], v[54:55]
	v_fma_f64 v[12:13], v[16:17], v[52:53], -v[12:13]
	v_fmac_f64_e32 v[14:15], v[18:19], v[52:53]
	ds_write_b128 v118, v[12:15] offset:4704
	ds_read_b128 v[12:15], v118 offset:5376
	ds_write_b128 v118, v[56:59] offset:1008
	s_waitcnt vmcnt(1) lgkmcnt(4)
	v_mul_f64 v[16:17], v[2:3], v[10:11]
	v_mul_f64 v[18:19], v[0:1], v[10:11]
	v_fma_f64 v[16:17], v[0:1], v[8:9], -v[16:17]
	v_fmac_f64_e32 v[18:19], v[2:3], v[8:9]
	ds_write_b128 v118, v[16:19] offset:5040
	s_waitcnt vmcnt(0) lgkmcnt(2)
	v_mul_f64 v[0:1], v[14:15], v[6:7]
	v_mul_f64 v[2:3], v[12:13], v[6:7]
	v_fma_f64 v[0:1], v[12:13], v[4:5], -v[0:1]
	v_fmac_f64_e32 v[2:3], v[14:15], v[4:5]
	ds_write_b128 v118, v[0:3] offset:5376
	s_and_saveexec_b64 s[0:1], vcc
	s_cbranch_execz .LBB0_9
; %bb.8:
	global_load_dwordx4 v[4:7], v[46:47], off offset:272
	ds_read_b128 v[0:3], v118 offset:272
	s_waitcnt vmcnt(0) lgkmcnt(0)
	v_mul_f64 v[8:9], v[2:3], v[6:7]
	v_mul_f64 v[10:11], v[0:1], v[6:7]
	v_fma_f64 v[8:9], v[0:1], v[4:5], -v[8:9]
	v_fmac_f64_e32 v[10:11], v[2:3], v[4:5]
	global_load_dwordx4 v[4:7], v[46:47], off offset:608
	ds_read_b128 v[0:3], v118 offset:608
	ds_write_b128 v118, v[8:11] offset:272
	s_waitcnt vmcnt(0) lgkmcnt(1)
	v_mul_f64 v[8:9], v[2:3], v[6:7]
	v_mul_f64 v[10:11], v[0:1], v[6:7]
	v_fma_f64 v[8:9], v[0:1], v[4:5], -v[8:9]
	v_fmac_f64_e32 v[10:11], v[2:3], v[4:5]
	global_load_dwordx4 v[4:7], v[46:47], off offset:944
	ds_read_b128 v[0:3], v118 offset:944
	ds_write_b128 v118, v[8:11] offset:608
	;; [unrolled: 8-line block ×14, first 2 shown]
	s_waitcnt vmcnt(0) lgkmcnt(1)
	v_mul_f64 v[8:9], v[2:3], v[6:7]
	v_mul_f64 v[10:11], v[0:1], v[6:7]
	v_fma_f64 v[8:9], v[0:1], v[4:5], -v[8:9]
	v_fmac_f64_e32 v[10:11], v[2:3], v[4:5]
	v_mov_b32_e32 v4, 0x14c0
	v_lshl_or_b32 v4, v150, 4, v4
	global_load_dwordx4 v[4:7], v4, s[8:9]
	ds_read_b128 v[0:3], v118 offset:5312
	ds_write_b128 v118, v[8:11] offset:4976
	s_waitcnt vmcnt(0) lgkmcnt(1)
	v_mul_f64 v[8:9], v[2:3], v[6:7]
	v_mul_f64 v[10:11], v[0:1], v[6:7]
	v_fma_f64 v[8:9], v[0:1], v[4:5], -v[8:9]
	v_fmac_f64_e32 v[10:11], v[2:3], v[4:5]
	global_load_dwordx4 v[4:7], v[44:45], off offset:1552
	ds_read_b128 v[0:3], v118 offset:5648
	ds_write_b128 v118, v[8:11] offset:5312
	s_waitcnt vmcnt(0) lgkmcnt(1)
	v_mul_f64 v[8:9], v[2:3], v[6:7]
	v_mul_f64 v[10:11], v[0:1], v[6:7]
	v_fma_f64 v[8:9], v[0:1], v[4:5], -v[8:9]
	v_fmac_f64_e32 v[10:11], v[2:3], v[4:5]
	ds_write_b128 v118, v[8:11] offset:5648
.LBB0_9:
	s_or_b64 exec, exec, s[0:1]
	s_waitcnt lgkmcnt(0)
	s_barrier
	ds_read_b128 v[56:59], v118
	ds_read_b128 v[64:67], v118 offset:336
	ds_read_b128 v[52:55], v118 offset:672
	;; [unrolled: 1-line block ×16, first 2 shown]
	s_and_saveexec_b64 s[0:1], vcc
	s_cbranch_execz .LBB0_11
; %bb.10:
	v_lshl_add_u32 v32, v150, 4, v144
	ds_read_b128 v[240:243], v118 offset:272
	ds_read_b128 v[244:247], v32 offset:608
	;; [unrolled: 1-line block ×17, first 2 shown]
.LBB0_11:
	s_or_b64 exec, exec, s[0:1]
	s_waitcnt lgkmcnt(14)
	v_add_f64 v[32:33], v[56:57], v[64:65]
	v_add_f64 v[34:35], v[58:59], v[66:67]
	;; [unrolled: 1-line block ×4, first 2 shown]
	s_waitcnt lgkmcnt(13)
	v_add_f64 v[32:33], v[32:33], v[44:45]
	v_add_f64 v[34:35], v[34:35], v[46:47]
	s_waitcnt lgkmcnt(12)
	v_add_f64 v[32:33], v[32:33], v[36:37]
	v_add_f64 v[34:35], v[34:35], v[38:39]
	s_waitcnt lgkmcnt(11)
	v_add_f64 v[32:33], v[32:33], v[24:25]
	v_add_f64 v[34:35], v[34:35], v[26:27]
	s_waitcnt lgkmcnt(10)
	v_add_f64 v[32:33], v[32:33], v[16:17]
	v_add_f64 v[34:35], v[34:35], v[18:19]
	s_waitcnt lgkmcnt(9)
	v_add_f64 v[32:33], v[32:33], v[8:9]
	v_add_f64 v[34:35], v[34:35], v[10:11]
	s_waitcnt lgkmcnt(8)
	v_add_f64 v[32:33], v[32:33], v[0:1]
	v_add_f64 v[34:35], v[34:35], v[2:3]
	s_waitcnt lgkmcnt(7)
	v_add_f64 v[32:33], v[32:33], v[4:5]
	v_add_f64 v[34:35], v[34:35], v[6:7]
	s_waitcnt lgkmcnt(6)
	v_add_f64 v[32:33], v[32:33], v[12:13]
	v_add_f64 v[34:35], v[34:35], v[14:15]
	s_waitcnt lgkmcnt(5)
	v_add_f64 v[32:33], v[32:33], v[20:21]
	v_add_f64 v[34:35], v[34:35], v[22:23]
	s_waitcnt lgkmcnt(4)
	v_add_f64 v[32:33], v[32:33], v[28:29]
	v_add_f64 v[34:35], v[34:35], v[30:31]
	s_waitcnt lgkmcnt(3)
	v_add_f64 v[32:33], v[32:33], v[40:41]
	v_add_f64 v[34:35], v[34:35], v[42:43]
	s_waitcnt lgkmcnt(2)
	v_add_f64 v[32:33], v[32:33], v[48:49]
	s_mov_b32 s12, 0x5d8e7cdc
	s_mov_b32 s16, 0x2a9d6da3
	;; [unrolled: 1-line block ×8, first 2 shown]
	v_add_f64 v[34:35], v[34:35], v[50:51]
	s_waitcnt lgkmcnt(1)
	v_add_f64 v[32:33], v[32:33], v[60:61]
	s_waitcnt lgkmcnt(0)
	v_add_f64 v[78:79], v[66:67], v[70:71]
	v_add_f64 v[66:67], v[66:67], -v[70:71]
	s_mov_b32 s13, 0xbfd71e95
	s_mov_b32 s0, 0x370991
	;; [unrolled: 1-line block ×16, first 2 shown]
	v_add_f64 v[34:35], v[34:35], v[62:63]
	v_add_f64 v[32:33], v[32:33], v[68:69]
	;; [unrolled: 1-line block ×3, first 2 shown]
	v_add_f64 v[64:65], v[64:65], -v[68:69]
	v_mul_f64 v[68:69], v[66:67], s[12:13]
	s_mov_b32 s1, 0x3fedd6d0
	v_mul_f64 v[84:85], v[66:67], s[16:17]
	s_mov_b32 s9, 0x3fe7a5f6
	;; [unrolled: 2-line block ×8, first 2 shown]
	v_add_f64 v[34:35], v[34:35], v[70:71]
	v_fma_f64 v[70:71], s[0:1], v[76:77], v[68:69]
	v_fma_f64 v[68:69], v[76:77], s[0:1], -v[68:69]
	v_fma_f64 v[86:87], s[8:9], v[76:77], v[84:85]
	v_fma_f64 v[84:85], v[76:77], s[8:9], -v[84:85]
	;; [unrolled: 2-line block ×8, first 2 shown]
	v_add_f64 v[70:71], v[56:57], v[70:71]
	v_mul_f64 v[80:81], v[78:79], s[0:1]
	s_mov_b32 s35, 0x3fd71e95
	s_mov_b32 s34, s12
	v_add_f64 v[68:69], v[56:57], v[68:69]
	v_add_f64 v[86:87], v[56:57], v[86:87]
	v_mul_f64 v[88:89], v[78:79], s[8:9]
	s_mov_b32 s49, 0x3fe58eea
	s_mov_b32 s48, s16
	v_add_f64 v[84:85], v[56:57], v[84:85]
	;; [unrolled: 5-line block ×8, first 2 shown]
	v_add_f64 v[66:67], v[54:55], v[62:63]
	v_add_f64 v[54:55], v[54:55], -v[62:63]
	v_fma_f64 v[82:83], s[34:35], v[64:65], v[80:81]
	v_fmac_f64_e32 v[80:81], s[12:13], v[64:65]
	v_fma_f64 v[90:91], s[48:49], v[64:65], v[88:89]
	v_fmac_f64_e32 v[88:89], s[16:17], v[64:65]
	;; [unrolled: 2-line block ×8, first 2 shown]
	v_add_f64 v[64:65], v[52:53], v[60:61]
	v_add_f64 v[52:53], v[52:53], -v[60:61]
	v_mul_f64 v[60:61], v[54:55], s[16:17]
	v_fma_f64 v[62:63], s[8:9], v[64:65], v[60:61]
	v_add_f64 v[62:63], v[62:63], v[70:71]
	v_mul_f64 v[70:71], v[66:67], s[8:9]
	v_add_f64 v[80:81], v[58:59], v[80:81]
	v_fma_f64 v[76:77], s[48:49], v[52:53], v[70:71]
	v_fma_f64 v[60:61], v[64:65], s[8:9], -v[60:61]
	v_fmac_f64_e32 v[70:71], s[16:17], v[52:53]
	v_add_f64 v[60:61], v[60:61], v[68:69]
	v_add_f64 v[68:69], v[70:71], v[80:81]
	v_mul_f64 v[70:71], v[54:55], s[24:25]
	v_add_f64 v[82:83], v[58:59], v[82:83]
	v_add_f64 v[90:91], v[58:59], v[90:91]
	;; [unrolled: 1-line block ×15, first 2 shown]
	v_fma_f64 v[78:79], s[18:19], v[64:65], v[70:71]
	v_fma_f64 v[70:71], v[64:65], s[18:19], -v[70:71]
	v_add_f64 v[70:71], v[70:71], v[84:85]
	v_mul_f64 v[84:85], v[54:55], s[36:37]
	v_add_f64 v[78:79], v[78:79], v[86:87]
	v_mul_f64 v[80:81], v[66:67], s[18:19]
	v_fma_f64 v[86:87], s[26:27], v[64:65], v[84:85]
	v_fma_f64 v[84:85], v[64:65], s[26:27], -v[84:85]
	v_add_f64 v[76:77], v[76:77], v[82:83]
	v_fma_f64 v[82:83], s[56:57], v[52:53], v[80:81]
	v_fmac_f64_e32 v[80:81], s[24:25], v[52:53]
	v_add_f64 v[84:85], v[84:85], v[92:93]
	v_mul_f64 v[92:93], v[54:55], s[44:45]
	v_add_f64 v[80:81], v[80:81], v[88:89]
	v_add_f64 v[86:87], v[86:87], v[94:95]
	v_mul_f64 v[88:89], v[66:67], s[26:27]
	v_fma_f64 v[94:95], s[38:39], v[64:65], v[92:93]
	v_fma_f64 v[92:93], v[64:65], s[38:39], -v[92:93]
	v_add_f64 v[82:83], v[82:83], v[90:91]
	v_fma_f64 v[90:91], s[54:55], v[52:53], v[88:89]
	v_fmac_f64_e32 v[88:89], s[36:37], v[52:53]
	v_add_f64 v[92:93], v[92:93], v[100:101]
	v_mul_f64 v[100:101], v[54:55], s[50:51]
	v_add_f64 v[88:89], v[88:89], v[96:97]
	;; [unrolled: 10-line block ×3, first 2 shown]
	v_add_f64 v[102:103], v[102:103], v[110:111]
	v_mul_f64 v[104:105], v[66:67], s[30:31]
	v_fma_f64 v[110:111], s[22:23], v[64:65], v[108:109]
	v_add_f64 v[98:99], v[98:99], v[106:107]
	v_fma_f64 v[106:107], s[40:41], v[52:53], v[104:105]
	v_fmac_f64_e32 v[104:105], s[50:51], v[52:53]
	v_add_f64 v[74:75], v[110:111], v[74:75]
	v_mul_f64 v[110:111], v[66:67], s[22:23]
	v_add_f64 v[106:107], v[106:107], v[114:115]
	v_add_f64 v[104:105], v[104:105], v[112:113]
	v_fma_f64 v[112:113], s[28:29], v[52:53], v[110:111]
	v_fma_f64 v[108:109], v[64:65], s[22:23], -v[108:109]
	v_fmac_f64_e32 v[110:111], s[46:47], v[52:53]
	v_mul_f64 v[114:115], v[54:55], s[42:43]
	v_add_f64 v[108:109], v[108:109], v[116:117]
	v_add_f64 v[110:111], v[110:111], v[128:129]
	v_fma_f64 v[116:117], s[14:15], v[64:65], v[114:115]
	v_mul_f64 v[128:129], v[66:67], s[14:15]
	v_mul_f64 v[66:67], v[66:67], s[0:1]
	v_add_f64 v[116:117], v[116:117], v[134:135]
	v_fma_f64 v[114:115], v[64:65], s[14:15], -v[114:115]
	v_mul_f64 v[54:55], v[54:55], s[34:35]
	v_fma_f64 v[134:135], s[12:13], v[52:53], v[66:67]
	v_fmac_f64_e32 v[66:67], s[34:35], v[52:53]
	v_add_f64 v[112:113], v[112:113], v[130:131]
	v_fma_f64 v[130:131], s[20:21], v[52:53], v[128:129]
	v_add_f64 v[114:115], v[114:115], v[132:133]
	v_fmac_f64_e32 v[128:129], s[42:43], v[52:53]
	v_fma_f64 v[132:133], s[0:1], v[64:65], v[54:55]
	v_fma_f64 v[54:55], v[64:65], s[0:1], -v[54:55]
	v_add_f64 v[52:53], v[66:67], v[58:59]
	v_add_f64 v[58:59], v[46:47], v[50:51]
	v_add_f64 v[46:47], v[46:47], -v[50:51]
	v_add_f64 v[54:55], v[54:55], v[56:57]
	v_add_f64 v[56:57], v[44:45], v[48:49]
	v_add_f64 v[44:45], v[44:45], -v[48:49]
	v_mul_f64 v[48:49], v[46:47], s[20:21]
	v_fma_f64 v[50:51], s[14:15], v[56:57], v[48:49]
	v_add_f64 v[50:51], v[50:51], v[62:63]
	v_mul_f64 v[62:63], v[58:59], s[14:15]
	v_fma_f64 v[64:65], s[42:43], v[44:45], v[62:63]
	v_fma_f64 v[48:49], v[56:57], s[14:15], -v[48:49]
	v_fmac_f64_e32 v[62:63], s[20:21], v[44:45]
	v_add_f64 v[48:49], v[48:49], v[60:61]
	v_add_f64 v[60:61], v[62:63], v[68:69]
	v_mul_f64 v[62:63], v[46:47], s[36:37]
	v_fma_f64 v[66:67], s[26:27], v[56:57], v[62:63]
	v_fma_f64 v[62:63], v[56:57], s[26:27], -v[62:63]
	v_mul_f64 v[68:69], v[58:59], s[26:27]
	v_add_f64 v[62:63], v[62:63], v[70:71]
	v_mul_f64 v[70:71], v[46:47], s[52:53]
	v_add_f64 v[64:65], v[64:65], v[76:77]
	v_add_f64 v[66:67], v[66:67], v[78:79]
	v_fma_f64 v[76:77], s[54:55], v[44:45], v[68:69]
	v_fmac_f64_e32 v[68:69], s[36:37], v[44:45]
	v_fma_f64 v[78:79], s[38:39], v[56:57], v[70:71]
	v_fma_f64 v[70:71], v[56:57], s[38:39], -v[70:71]
	v_add_f64 v[68:69], v[68:69], v[80:81]
	v_mul_f64 v[80:81], v[58:59], s[38:39]
	v_add_f64 v[70:71], v[70:71], v[84:85]
	v_mul_f64 v[84:85], v[46:47], s[46:47]
	v_add_f64 v[76:77], v[76:77], v[82:83]
	v_add_f64 v[78:79], v[78:79], v[86:87]
	v_fma_f64 v[82:83], s[44:45], v[44:45], v[80:81]
	v_fmac_f64_e32 v[80:81], s[52:53], v[44:45]
	v_fma_f64 v[86:87], s[22:23], v[56:57], v[84:85]
	v_fma_f64 v[84:85], v[56:57], s[22:23], -v[84:85]
	v_add_f64 v[80:81], v[80:81], v[88:89]
	;; [unrolled: 10-line block ×3, first 2 shown]
	v_mul_f64 v[96:97], v[58:59], s[8:9]
	v_add_f64 v[92:93], v[92:93], v[100:101]
	v_mul_f64 v[100:101], v[46:47], s[12:13]
	v_add_f64 v[90:91], v[90:91], v[98:99]
	v_add_f64 v[94:95], v[94:95], v[102:103]
	v_fma_f64 v[98:99], s[16:17], v[44:45], v[96:97]
	v_fma_f64 v[102:103], s[0:1], v[56:57], v[100:101]
	v_add_f64 v[98:99], v[98:99], v[106:107]
	v_fmac_f64_e32 v[96:97], s[48:49], v[44:45]
	v_add_f64 v[74:75], v[102:103], v[74:75]
	v_mul_f64 v[102:103], v[58:59], s[0:1]
	v_fma_f64 v[100:101], v[56:57], s[0:1], -v[100:101]
	v_mul_f64 v[106:107], v[46:47], s[24:25]
	v_add_f64 v[96:97], v[96:97], v[104:105]
	v_fma_f64 v[104:105], s[34:35], v[44:45], v[102:103]
	v_add_f64 v[100:101], v[100:101], v[108:109]
	v_fmac_f64_e32 v[102:103], s[12:13], v[44:45]
	v_fma_f64 v[108:109], s[18:19], v[56:57], v[106:107]
	v_fma_f64 v[106:107], v[56:57], s[18:19], -v[106:107]
	v_mul_f64 v[46:47], v[46:47], s[40:41]
	v_add_f64 v[102:103], v[102:103], v[110:111]
	v_mul_f64 v[110:111], v[58:59], s[18:19]
	v_add_f64 v[106:107], v[106:107], v[114:115]
	v_fma_f64 v[114:115], s[30:31], v[56:57], v[46:47]
	v_mul_f64 v[58:59], v[58:59], s[30:31]
	v_fma_f64 v[46:47], v[56:57], s[30:31], -v[46:47]
	v_add_f64 v[108:109], v[108:109], v[116:117]
	v_fma_f64 v[116:117], s[50:51], v[44:45], v[58:59]
	v_add_f64 v[46:47], v[46:47], v[54:55]
	v_fmac_f64_e32 v[58:59], s[40:41], v[44:45]
	v_add_f64 v[54:55], v[38:39], v[42:43]
	v_add_f64 v[38:39], v[38:39], -v[42:43]
	v_add_f64 v[104:105], v[104:105], v[112:113]
	v_fma_f64 v[112:113], s[56:57], v[44:45], v[110:111]
	v_fmac_f64_e32 v[110:111], s[24:25], v[44:45]
	v_add_f64 v[44:45], v[58:59], v[52:53]
	v_add_f64 v[52:53], v[36:37], v[40:41]
	v_add_f64 v[36:37], v[36:37], -v[40:41]
	v_mul_f64 v[40:41], v[38:39], s[24:25]
	v_fma_f64 v[42:43], s[18:19], v[52:53], v[40:41]
	v_add_f64 v[42:43], v[42:43], v[50:51]
	v_mul_f64 v[50:51], v[54:55], s[18:19]
	v_fma_f64 v[56:57], s[56:57], v[36:37], v[50:51]
	v_fma_f64 v[40:41], v[52:53], s[18:19], -v[40:41]
	v_fmac_f64_e32 v[50:51], s[24:25], v[36:37]
	v_add_f64 v[40:41], v[40:41], v[48:49]
	v_add_f64 v[48:49], v[50:51], v[60:61]
	v_mul_f64 v[50:51], v[38:39], s[44:45]
	v_fma_f64 v[58:59], s[38:39], v[52:53], v[50:51]
	v_fma_f64 v[50:51], v[52:53], s[38:39], -v[50:51]
	v_mul_f64 v[60:61], v[54:55], s[38:39]
	v_add_f64 v[50:51], v[50:51], v[62:63]
	v_mul_f64 v[62:63], v[38:39], s[46:47]
	v_add_f64 v[56:57], v[56:57], v[64:65]
	v_add_f64 v[58:59], v[58:59], v[66:67]
	v_fma_f64 v[64:65], s[52:53], v[36:37], v[60:61]
	v_fmac_f64_e32 v[60:61], s[44:45], v[36:37]
	v_fma_f64 v[66:67], s[22:23], v[52:53], v[62:63]
	v_fma_f64 v[62:63], v[52:53], s[22:23], -v[62:63]
	v_add_f64 v[60:61], v[60:61], v[68:69]
	v_mul_f64 v[68:69], v[54:55], s[22:23]
	v_add_f64 v[62:63], v[62:63], v[70:71]
	v_mul_f64 v[70:71], v[38:39], s[34:35]
	v_add_f64 v[64:65], v[64:65], v[76:77]
	v_add_f64 v[66:67], v[66:67], v[78:79]
	v_fma_f64 v[76:77], s[28:29], v[36:37], v[68:69]
	v_fmac_f64_e32 v[68:69], s[46:47], v[36:37]
	v_fma_f64 v[78:79], s[0:1], v[52:53], v[70:71]
	v_fma_f64 v[70:71], v[52:53], s[0:1], -v[70:71]
	v_add_f64 v[68:69], v[68:69], v[80:81]
	;; [unrolled: 10-line block ×3, first 2 shown]
	v_mul_f64 v[88:89], v[54:55], s[14:15]
	v_add_f64 v[84:85], v[84:85], v[92:93]
	v_mul_f64 v[92:93], v[38:39], s[40:41]
	v_add_f64 v[82:83], v[82:83], v[90:91]
	v_add_f64 v[86:87], v[86:87], v[94:95]
	v_fma_f64 v[90:91], s[42:43], v[36:37], v[88:89]
	v_fma_f64 v[94:95], s[30:31], v[52:53], v[92:93]
	v_add_f64 v[90:91], v[90:91], v[98:99]
	v_fmac_f64_e32 v[88:89], s[20:21], v[36:37]
	v_add_f64 v[74:75], v[94:95], v[74:75]
	v_mul_f64 v[94:95], v[54:55], s[30:31]
	v_fma_f64 v[92:93], v[52:53], s[30:31], -v[92:93]
	v_mul_f64 v[98:99], v[38:39], s[54:55]
	v_add_f64 v[88:89], v[88:89], v[96:97]
	v_fma_f64 v[96:97], s[50:51], v[36:37], v[94:95]
	v_add_f64 v[92:93], v[92:93], v[100:101]
	v_fmac_f64_e32 v[94:95], s[40:41], v[36:37]
	v_fma_f64 v[100:101], s[26:27], v[52:53], v[98:99]
	v_fma_f64 v[98:99], v[52:53], s[26:27], -v[98:99]
	v_mul_f64 v[38:39], v[38:39], s[48:49]
	v_add_f64 v[94:95], v[94:95], v[102:103]
	v_mul_f64 v[102:103], v[54:55], s[26:27]
	v_add_f64 v[98:99], v[98:99], v[106:107]
	v_fma_f64 v[106:107], s[8:9], v[52:53], v[38:39]
	v_mul_f64 v[54:55], v[54:55], s[8:9]
	v_fma_f64 v[38:39], v[52:53], s[8:9], -v[38:39]
	v_add_f64 v[100:101], v[100:101], v[108:109]
	v_fma_f64 v[108:109], s[16:17], v[36:37], v[54:55]
	v_add_f64 v[38:39], v[38:39], v[46:47]
	v_fmac_f64_e32 v[54:55], s[48:49], v[36:37]
	v_add_f64 v[46:47], v[26:27], v[30:31]
	v_add_f64 v[26:27], v[26:27], -v[30:31]
	v_add_f64 v[96:97], v[96:97], v[104:105]
	v_fma_f64 v[104:105], s[36:37], v[36:37], v[102:103]
	v_fmac_f64_e32 v[102:103], s[54:55], v[36:37]
	v_add_f64 v[36:37], v[54:55], v[44:45]
	v_add_f64 v[44:45], v[24:25], v[28:29]
	v_add_f64 v[24:25], v[24:25], -v[28:29]
	v_mul_f64 v[28:29], v[26:27], s[28:29]
	v_fma_f64 v[30:31], s[22:23], v[44:45], v[28:29]
	v_add_f64 v[30:31], v[30:31], v[42:43]
	v_mul_f64 v[42:43], v[46:47], s[22:23]
	v_fma_f64 v[52:53], s[46:47], v[24:25], v[42:43]
	v_fma_f64 v[28:29], v[44:45], s[22:23], -v[28:29]
	v_fmac_f64_e32 v[42:43], s[28:29], v[24:25]
	v_add_f64 v[28:29], v[28:29], v[40:41]
	v_add_f64 v[40:41], v[42:43], v[48:49]
	v_mul_f64 v[42:43], v[26:27], s[50:51]
	v_mul_f64 v[54:55], v[46:47], s[30:31]
	v_add_f64 v[52:53], v[52:53], v[56:57]
	v_fma_f64 v[48:49], s[30:31], v[44:45], v[42:43]
	v_fma_f64 v[56:57], s[40:41], v[24:25], v[54:55]
	v_fma_f64 v[42:43], v[44:45], s[30:31], -v[42:43]
	v_fmac_f64_e32 v[54:55], s[50:51], v[24:25]
	v_add_f64 v[42:43], v[42:43], v[50:51]
	v_add_f64 v[50:51], v[54:55], v[60:61]
	v_mul_f64 v[54:55], v[26:27], s[48:49]
	v_add_f64 v[48:49], v[48:49], v[58:59]
	v_fma_f64 v[58:59], s[8:9], v[44:45], v[54:55]
	v_fma_f64 v[54:55], v[44:45], s[8:9], -v[54:55]
	v_mul_f64 v[60:61], v[46:47], s[8:9]
	v_add_f64 v[54:55], v[54:55], v[62:63]
	v_mul_f64 v[62:63], v[26:27], s[20:21]
	v_add_f64 v[56:57], v[56:57], v[64:65]
	v_add_f64 v[58:59], v[58:59], v[66:67]
	v_fma_f64 v[64:65], s[16:17], v[24:25], v[60:61]
	v_fmac_f64_e32 v[60:61], s[48:49], v[24:25]
	v_fma_f64 v[66:67], s[14:15], v[44:45], v[62:63]
	v_fma_f64 v[62:63], v[44:45], s[14:15], -v[62:63]
	v_add_f64 v[60:61], v[60:61], v[68:69]
	v_mul_f64 v[68:69], v[46:47], s[14:15]
	v_add_f64 v[62:63], v[62:63], v[70:71]
	v_mul_f64 v[70:71], v[26:27], s[44:45]
	v_add_f64 v[64:65], v[64:65], v[76:77]
	v_add_f64 v[66:67], v[66:67], v[78:79]
	v_fma_f64 v[76:77], s[42:43], v[24:25], v[68:69]
	v_fmac_f64_e32 v[68:69], s[20:21], v[24:25]
	v_fma_f64 v[78:79], s[38:39], v[44:45], v[70:71]
	v_fma_f64 v[70:71], v[44:45], s[38:39], -v[70:71]
	v_add_f64 v[68:69], v[68:69], v[80:81]
	v_mul_f64 v[80:81], v[46:47], s[38:39]
	v_add_f64 v[70:71], v[70:71], v[84:85]
	v_mul_f64 v[84:85], v[26:27], s[56:57]
	v_add_f64 v[76:77], v[76:77], v[82:83]
	v_add_f64 v[78:79], v[78:79], v[86:87]
	v_fma_f64 v[82:83], s[52:53], v[24:25], v[80:81]
	v_fma_f64 v[86:87], s[18:19], v[44:45], v[84:85]
	v_add_f64 v[82:83], v[82:83], v[90:91]
	v_fmac_f64_e32 v[80:81], s[44:45], v[24:25]
	v_add_f64 v[74:75], v[86:87], v[74:75]
	v_mul_f64 v[86:87], v[46:47], s[18:19]
	v_fma_f64 v[84:85], v[44:45], s[18:19], -v[84:85]
	v_mul_f64 v[90:91], v[26:27], s[12:13]
	v_add_f64 v[80:81], v[80:81], v[88:89]
	v_fma_f64 v[88:89], s[24:25], v[24:25], v[86:87]
	v_add_f64 v[84:85], v[84:85], v[92:93]
	v_fmac_f64_e32 v[86:87], s[56:57], v[24:25]
	v_fma_f64 v[92:93], s[0:1], v[44:45], v[90:91]
	v_fma_f64 v[90:91], v[44:45], s[0:1], -v[90:91]
	v_mul_f64 v[26:27], v[26:27], s[36:37]
	v_add_f64 v[86:87], v[86:87], v[94:95]
	v_mul_f64 v[94:95], v[46:47], s[0:1]
	v_add_f64 v[90:91], v[90:91], v[98:99]
	v_fma_f64 v[98:99], s[26:27], v[44:45], v[26:27]
	v_mul_f64 v[46:47], v[46:47], s[26:27]
	v_fma_f64 v[26:27], v[44:45], s[26:27], -v[26:27]
	v_add_f64 v[92:93], v[92:93], v[100:101]
	v_fma_f64 v[100:101], s[54:55], v[24:25], v[46:47]
	v_add_f64 v[26:27], v[26:27], v[38:39]
	v_fmac_f64_e32 v[46:47], s[36:37], v[24:25]
	v_add_f64 v[38:39], v[18:19], v[22:23]
	v_add_f64 v[18:19], v[18:19], -v[22:23]
	v_add_f64 v[88:89], v[88:89], v[96:97]
	v_fma_f64 v[96:97], s[34:35], v[24:25], v[94:95]
	v_fmac_f64_e32 v[94:95], s[12:13], v[24:25]
	v_add_f64 v[24:25], v[46:47], v[36:37]
	v_add_f64 v[36:37], v[16:17], v[20:21]
	v_add_f64 v[16:17], v[16:17], -v[20:21]
	v_mul_f64 v[20:21], v[18:19], s[36:37]
	v_fma_f64 v[22:23], s[26:27], v[36:37], v[20:21]
	v_add_f64 v[22:23], v[22:23], v[30:31]
	v_mul_f64 v[30:31], v[38:39], s[26:27]
	v_fma_f64 v[44:45], s[54:55], v[16:17], v[30:31]
	v_fma_f64 v[20:21], v[36:37], s[26:27], -v[20:21]
	v_fmac_f64_e32 v[30:31], s[36:37], v[16:17]
	v_add_f64 v[20:21], v[20:21], v[28:29]
	v_add_f64 v[28:29], v[30:31], v[40:41]
	v_mul_f64 v[30:31], v[18:19], s[46:47]
	v_fma_f64 v[40:41], s[22:23], v[36:37], v[30:31]
	v_mul_f64 v[46:47], v[38:39], s[22:23]
	v_add_f64 v[40:41], v[40:41], v[48:49]
	v_fma_f64 v[48:49], s[28:29], v[16:17], v[46:47]
	v_fma_f64 v[30:31], v[36:37], s[22:23], -v[30:31]
	v_fmac_f64_e32 v[46:47], s[46:47], v[16:17]
	v_add_f64 v[30:31], v[30:31], v[42:43]
	v_add_f64 v[42:43], v[46:47], v[50:51]
	v_mul_f64 v[46:47], v[18:19], s[12:13]
	v_fma_f64 v[50:51], s[0:1], v[36:37], v[46:47]
	v_fma_f64 v[46:47], v[36:37], s[0:1], -v[46:47]
	v_add_f64 v[44:45], v[44:45], v[52:53]
	v_mul_f64 v[52:53], v[38:39], s[0:1]
	v_add_f64 v[46:47], v[46:47], v[54:55]
	v_mul_f64 v[54:55], v[18:19], s[40:41]
	v_add_f64 v[48:49], v[48:49], v[56:57]
	v_add_f64 v[50:51], v[50:51], v[58:59]
	v_fma_f64 v[56:57], s[34:35], v[16:17], v[52:53]
	v_fmac_f64_e32 v[52:53], s[12:13], v[16:17]
	v_fma_f64 v[58:59], s[30:31], v[36:37], v[54:55]
	v_fma_f64 v[54:55], v[36:37], s[30:31], -v[54:55]
	v_add_f64 v[52:53], v[52:53], v[60:61]
	v_mul_f64 v[60:61], v[38:39], s[30:31]
	v_add_f64 v[54:55], v[54:55], v[62:63]
	v_mul_f64 v[62:63], v[18:19], s[56:57]
	v_add_f64 v[56:57], v[56:57], v[64:65]
	v_add_f64 v[58:59], v[58:59], v[66:67]
	v_fma_f64 v[64:65], s[50:51], v[16:17], v[60:61]
	v_fmac_f64_e32 v[60:61], s[40:41], v[16:17]
	v_fma_f64 v[66:67], s[18:19], v[36:37], v[62:63]
	v_fma_f64 v[62:63], v[36:37], s[18:19], -v[62:63]
	v_add_f64 v[60:61], v[60:61], v[68:69]
	v_mul_f64 v[68:69], v[38:39], s[18:19]
	v_add_f64 v[62:63], v[62:63], v[70:71]
	v_mul_f64 v[70:71], v[18:19], s[16:17]
	v_add_f64 v[64:65], v[64:65], v[76:77]
	v_add_f64 v[66:67], v[66:67], v[78:79]
	v_fma_f64 v[76:77], s[24:25], v[16:17], v[68:69]
	v_fma_f64 v[78:79], s[8:9], v[36:37], v[70:71]
	v_add_f64 v[76:77], v[76:77], v[82:83]
	v_fmac_f64_e32 v[68:69], s[56:57], v[16:17]
	v_add_f64 v[74:75], v[78:79], v[74:75]
	v_mul_f64 v[78:79], v[38:39], s[8:9]
	v_fma_f64 v[70:71], v[36:37], s[8:9], -v[70:71]
	v_mul_f64 v[82:83], v[18:19], s[44:45]
	v_add_f64 v[68:69], v[68:69], v[80:81]
	v_fma_f64 v[80:81], s[48:49], v[16:17], v[78:79]
	v_add_f64 v[70:71], v[70:71], v[84:85]
	v_fmac_f64_e32 v[78:79], s[16:17], v[16:17]
	v_fma_f64 v[84:85], s[38:39], v[36:37], v[82:83]
	v_fma_f64 v[82:83], v[36:37], s[38:39], -v[82:83]
	v_mul_f64 v[18:19], v[18:19], s[42:43]
	v_add_f64 v[78:79], v[78:79], v[86:87]
	v_mul_f64 v[86:87], v[38:39], s[38:39]
	v_add_f64 v[82:83], v[82:83], v[90:91]
	v_fma_f64 v[90:91], s[14:15], v[36:37], v[18:19]
	v_mul_f64 v[38:39], v[38:39], s[14:15]
	v_fma_f64 v[18:19], v[36:37], s[14:15], -v[18:19]
	v_add_f64 v[84:85], v[84:85], v[92:93]
	v_fma_f64 v[92:93], s[20:21], v[16:17], v[38:39]
	v_add_f64 v[18:19], v[18:19], v[26:27]
	v_fmac_f64_e32 v[38:39], s[42:43], v[16:17]
	v_add_f64 v[26:27], v[10:11], v[14:15]
	v_add_f64 v[10:11], v[10:11], -v[14:15]
	v_add_f64 v[80:81], v[80:81], v[88:89]
	v_fma_f64 v[88:89], s[52:53], v[16:17], v[86:87]
	v_fmac_f64_e32 v[86:87], s[44:45], v[16:17]
	v_add_f64 v[16:17], v[38:39], v[24:25]
	v_add_f64 v[24:25], v[8:9], v[12:13]
	v_add_f64 v[8:9], v[8:9], -v[12:13]
	v_mul_f64 v[12:13], v[10:11], s[40:41]
	v_fma_f64 v[14:15], s[30:31], v[24:25], v[12:13]
	v_add_f64 v[14:15], v[14:15], v[22:23]
	v_mul_f64 v[22:23], v[26:27], s[30:31]
	v_fma_f64 v[36:37], s[50:51], v[8:9], v[22:23]
	v_fma_f64 v[12:13], v[24:25], s[30:31], -v[12:13]
	v_fmac_f64_e32 v[22:23], s[40:41], v[8:9]
	v_add_f64 v[12:13], v[12:13], v[20:21]
	v_add_f64 v[20:21], v[22:23], v[28:29]
	v_mul_f64 v[22:23], v[10:11], s[42:43]
	v_fma_f64 v[28:29], s[14:15], v[24:25], v[22:23]
	v_mul_f64 v[38:39], v[26:27], s[14:15]
	v_add_f64 v[28:29], v[28:29], v[40:41]
	v_fma_f64 v[40:41], s[20:21], v[8:9], v[38:39]
	v_fma_f64 v[22:23], v[24:25], s[14:15], -v[22:23]
	v_fmac_f64_e32 v[38:39], s[42:43], v[8:9]
	v_add_f64 v[22:23], v[22:23], v[30:31]
	v_add_f64 v[30:31], v[38:39], v[42:43]
	v_mul_f64 v[38:39], v[10:11], s[24:25]
	v_fma_f64 v[42:43], s[18:19], v[24:25], v[38:39]
	v_fma_f64 v[38:39], v[24:25], s[18:19], -v[38:39]
	v_add_f64 v[36:37], v[36:37], v[44:45]
	v_mul_f64 v[44:45], v[26:27], s[18:19]
	v_add_f64 v[38:39], v[38:39], v[46:47]
	v_mul_f64 v[46:47], v[10:11], s[54:55]
	v_add_f64 v[40:41], v[40:41], v[48:49]
	v_add_f64 v[42:43], v[42:43], v[50:51]
	v_fma_f64 v[48:49], s[56:57], v[8:9], v[44:45]
	v_fmac_f64_e32 v[44:45], s[24:25], v[8:9]
	v_fma_f64 v[50:51], s[26:27], v[24:25], v[46:47]
	v_fma_f64 v[46:47], v[24:25], s[26:27], -v[46:47]
	v_add_f64 v[44:45], v[44:45], v[52:53]
	v_mul_f64 v[52:53], v[26:27], s[26:27]
	v_add_f64 v[46:47], v[46:47], v[54:55]
	v_mul_f64 v[54:55], v[10:11], s[12:13]
	v_add_f64 v[48:49], v[48:49], v[56:57]
	v_add_f64 v[50:51], v[50:51], v[58:59]
	v_fma_f64 v[56:57], s[36:37], v[8:9], v[52:53]
	v_fmac_f64_e32 v[52:53], s[54:55], v[8:9]
	v_fma_f64 v[58:59], s[0:1], v[24:25], v[54:55]
	v_fma_f64 v[54:55], v[24:25], s[0:1], -v[54:55]
	v_add_f64 v[130:131], v[130:131], v[138:139]
	v_add_f64 v[132:133], v[132:133], v[140:141]
	;; [unrolled: 1-line block ×3, first 2 shown]
	v_mul_f64 v[60:61], v[26:27], s[0:1]
	v_add_f64 v[54:55], v[54:55], v[62:63]
	v_mul_f64 v[62:63], v[10:11], s[44:45]
	v_add_f64 v[128:129], v[128:129], v[136:137]
	v_add_f64 v[134:135], v[134:135], v[142:143]
	;; [unrolled: 1-line block ×6, first 2 shown]
	v_fma_f64 v[64:65], s[34:35], v[8:9], v[60:61]
	v_fmac_f64_e32 v[60:61], s[12:13], v[8:9]
	v_fma_f64 v[66:67], s[38:39], v[24:25], v[62:63]
	v_fma_f64 v[62:63], v[24:25], s[38:39], -v[62:63]
	v_add_f64 v[110:111], v[110:111], v[128:129]
	v_add_f64 v[116:117], v[116:117], v[134:135]
	;; [unrolled: 1-line block ×5, first 2 shown]
	v_mul_f64 v[68:69], v[26:27], s[38:39]
	v_add_f64 v[62:63], v[62:63], v[70:71]
	v_mul_f64 v[70:71], v[10:11], s[48:49]
	v_add_f64 v[102:103], v[102:103], v[110:111]
	v_add_f64 v[108:109], v[108:109], v[116:117]
	;; [unrolled: 1-line block ×6, first 2 shown]
	v_fma_f64 v[74:75], s[52:53], v[8:9], v[68:69]
	v_fmac_f64_e32 v[68:69], s[44:45], v[8:9]
	v_fma_f64 v[76:77], s[8:9], v[24:25], v[70:71]
	v_fma_f64 v[70:71], v[24:25], s[8:9], -v[70:71]
	v_mul_f64 v[10:11], v[10:11], s[28:29]
	v_add_f64 v[94:95], v[94:95], v[102:103]
	v_add_f64 v[100:101], v[100:101], v[108:109]
	;; [unrolled: 1-line block ×5, first 2 shown]
	v_mul_f64 v[78:79], v[26:27], s[8:9]
	v_add_f64 v[70:71], v[70:71], v[82:83]
	v_fma_f64 v[82:83], s[22:23], v[24:25], v[10:11]
	v_mul_f64 v[26:27], v[26:27], s[22:23]
	v_add_f64 v[96:97], v[2:3], -v[6:7]
	v_add_f64 v[86:87], v[86:87], v[94:95]
	v_add_f64 v[92:93], v[92:93], v[100:101]
	v_add_f64 v[76:77], v[76:77], v[84:85]
	v_add_f64 v[82:83], v[82:83], v[90:91]
	v_fma_f64 v[84:85], s[46:47], v[8:9], v[26:27]
	v_add_f64 v[90:91], v[0:1], v[4:5]
	v_add_f64 v[94:95], v[0:1], -v[4:5]
	v_mul_f64 v[4:5], v[96:97], s[44:45]
	v_add_f64 v[84:85], v[84:85], v[92:93]
	v_add_f64 v[92:93], v[2:3], v[6:7]
	v_fma_f64 v[0:1], s[38:39], v[90:91], v[4:5]
	v_fma_f64 v[4:5], v[90:91], s[38:39], -v[4:5]
	v_mul_f64 v[6:7], v[92:93], s[38:39]
	v_add_f64 v[4:5], v[4:5], v[12:13]
	v_mul_f64 v[12:13], v[96:97], s[34:35]
	v_add_f64 v[74:75], v[74:75], v[80:81]
	v_fma_f64 v[80:81], s[16:17], v[8:9], v[78:79]
	v_fmac_f64_e32 v[78:79], s[48:49], v[8:9]
	v_fmac_f64_e32 v[26:27], s[28:29], v[8:9]
	v_fma_f64 v[2:3], s[52:53], v[94:95], v[6:7]
	v_fmac_f64_e32 v[6:7], s[44:45], v[94:95]
	v_fma_f64 v[8:9], s[0:1], v[90:91], v[12:13]
	v_fma_f64 v[12:13], v[90:91], s[0:1], -v[12:13]
	v_fma_f64 v[10:11], v[24:25], s[22:23], -v[10:11]
	v_add_f64 v[0:1], v[0:1], v[14:15]
	v_add_f64 v[6:7], v[6:7], v[20:21]
	v_mul_f64 v[14:15], v[92:93], s[0:1]
	v_add_f64 v[12:13], v[12:13], v[22:23]
	v_mul_f64 v[20:21], v[96:97], s[40:41]
	v_mul_f64 v[22:23], v[92:93], s[30:31]
	v_add_f64 v[80:81], v[80:81], v[88:89]
	v_add_f64 v[78:79], v[78:79], v[86:87]
	v_add_f64 v[86:87], v[10:11], v[18:19]
	v_add_f64 v[88:89], v[26:27], v[16:17]
	v_fma_f64 v[10:11], s[12:13], v[94:95], v[14:15]
	v_fmac_f64_e32 v[14:15], s[34:35], v[94:95]
	v_fma_f64 v[16:17], s[30:31], v[90:91], v[20:21]
	v_fma_f64 v[18:19], s[50:51], v[94:95], v[22:23]
	v_add_f64 v[8:9], v[8:9], v[28:29]
	v_add_f64 v[10:11], v[10:11], v[40:41]
	v_add_f64 v[14:15], v[14:15], v[30:31]
	v_add_f64 v[16:17], v[16:17], v[42:43]
	v_add_f64 v[18:19], v[18:19], v[48:49]
	v_fma_f64 v[20:21], v[90:91], s[30:31], -v[20:21]
	v_fmac_f64_e32 v[22:23], s[40:41], v[94:95]
	v_mul_f64 v[28:29], v[96:97], s[48:49]
	v_mul_f64 v[30:31], v[92:93], s[8:9]
	;; [unrolled: 1-line block ×5, first 2 shown]
	v_add_f64 v[2:3], v[2:3], v[36:37]
	v_add_f64 v[20:21], v[20:21], v[38:39]
	;; [unrolled: 1-line block ×3, first 2 shown]
	v_fma_f64 v[24:25], s[8:9], v[90:91], v[28:29]
	v_fma_f64 v[26:27], s[16:17], v[94:95], v[30:31]
	;; [unrolled: 1-line block ×5, first 2 shown]
	v_add_f64 v[24:25], v[24:25], v[50:51]
	v_add_f64 v[26:27], v[26:27], v[56:57]
	v_fma_f64 v[28:29], v[90:91], s[8:9], -v[28:29]
	v_fmac_f64_e32 v[30:31], s[48:49], v[94:95]
	v_add_f64 v[36:37], v[36:37], v[58:59]
	v_add_f64 v[38:39], v[38:39], v[64:65]
	v_fma_f64 v[40:41], v[90:91], s[26:27], -v[40:41]
	v_fmac_f64_e32 v[42:43], s[36:37], v[94:95]
	v_add_f64 v[44:45], v[44:45], v[66:67]
	v_mul_f64 v[50:51], v[92:93], s[14:15]
	v_fma_f64 v[48:49], v[90:91], s[14:15], -v[48:49]
	v_mul_f64 v[56:57], v[96:97], s[28:29]
	v_mul_f64 v[58:59], v[92:93], s[22:23]
	;; [unrolled: 1-line block ×4, first 2 shown]
	v_add_u32_e32 v188, 0x110, v73
	v_add_u32_e32 v171, 0x220, v73
	v_add_f64 v[28:29], v[28:29], v[46:47]
	v_add_f64 v[30:31], v[30:31], v[52:53]
	;; [unrolled: 1-line block ×4, first 2 shown]
	v_fma_f64 v[46:47], s[20:21], v[94:95], v[50:51]
	v_add_f64 v[48:49], v[48:49], v[62:63]
	v_fmac_f64_e32 v[50:51], s[42:43], v[94:95]
	v_fma_f64 v[52:53], s[22:23], v[90:91], v[56:57]
	v_fma_f64 v[54:55], s[46:47], v[94:95], v[58:59]
	v_fma_f64 v[56:57], v[90:91], s[22:23], -v[56:57]
	v_fmac_f64_e32 v[58:59], s[28:29], v[94:95]
	v_fma_f64 v[60:61], s[18:19], v[90:91], v[64:65]
	v_fma_f64 v[62:63], s[24:25], v[94:95], v[66:67]
	v_fma_f64 v[64:65], v[90:91], s[18:19], -v[64:65]
	v_fmac_f64_e32 v[66:67], s[56:57], v[94:95]
	v_add_f64 v[46:47], v[46:47], v[74:75]
	v_add_f64 v[50:51], v[50:51], v[68:69]
	v_add_f64 v[52:53], v[52:53], v[76:77]
	v_add_f64 v[54:55], v[54:55], v[80:81]
	v_add_f64 v[56:57], v[56:57], v[70:71]
	v_add_f64 v[58:59], v[58:59], v[78:79]
	v_add_f64 v[60:61], v[60:61], v[82:83]
	v_add_f64 v[62:63], v[62:63], v[84:85]
	v_add_f64 v[64:65], v[64:65], v[86:87]
	v_add_f64 v[66:67], v[66:67], v[88:89]
	s_barrier
	ds_write_b128 v72, v[32:35]
	ds_write_b128 v72, v[0:3] offset:16
	ds_write_b128 v72, v[8:11] offset:32
	;; [unrolled: 1-line block ×16, first 2 shown]
	s_and_saveexec_b64 s[58:59], vcc
	s_cbranch_execz .LBB0_13
; %bb.12:
	v_accvgpr_write_b32 a134, v210
	v_accvgpr_write_b32 a138, v214
	;; [unrolled: 1-line block ×8, first 2 shown]
	v_accvgpr_read_b32 v215, a121
	v_accvgpr_read_b32 v219, a125
	;; [unrolled: 1-line block ×8, first 2 shown]
	v_accvgpr_write_b32 a118, v202
	v_accvgpr_write_b32 a122, v206
	v_accvgpr_write_b32 a119, v203
	v_accvgpr_write_b32 a120, v204
	v_accvgpr_write_b32 a121, v205
	v_accvgpr_write_b32 a123, v207
	v_accvgpr_write_b32 a124, v208
	v_accvgpr_write_b32 a125, v209
	v_accvgpr_read_b32 v207, a113
	v_accvgpr_read_b32 v211, a117
	;; [unrolled: 1-line block ×8, first 2 shown]
	v_accvgpr_write_b32 a110, v194
	v_accvgpr_write_b32 a114, v198
	;; [unrolled: 1-line block ×8, first 2 shown]
	v_accvgpr_read_b32 v199, a105
	v_accvgpr_read_b32 v198, a104
	;; [unrolled: 1-line block ×4, first 2 shown]
	v_accvgpr_write_b32 a102, v190
	v_accvgpr_write_b32 a103, v191
	;; [unrolled: 1-line block ×5, first 2 shown]
	v_accvgpr_read_b32 v191, a97
	v_accvgpr_read_b32 v195, a101
	v_accvgpr_read_b32 v203, a109
	v_accvgpr_read_b32 v190, a96
	v_accvgpr_read_b32 v189, a95
	v_accvgpr_read_b32 v188, a94
	v_accvgpr_read_b32 v194, a100
	v_accvgpr_read_b32 v193, a99
	v_accvgpr_read_b32 v192, a98
	v_accvgpr_write_b32 a96, v172
	v_accvgpr_write_b32 a1, v168
	;; [unrolled: 1-line block ×5, first 2 shown]
	v_accvgpr_read_b32 v171, a77
	v_accvgpr_read_b32 v202, a108
	;; [unrolled: 1-line block ×4, first 2 shown]
	v_accvgpr_write_b32 a106, v176
	v_accvgpr_write_b32 a97, v173
	;; [unrolled: 1-line block ×4, first 2 shown]
	v_accvgpr_read_b32 v175, a81
	v_accvgpr_read_b32 v169, a75
	;; [unrolled: 1-line block ×3, first 2 shown]
	v_accvgpr_write_b32 a126, v180
	v_accvgpr_write_b32 a130, v184
	;; [unrolled: 1-line block ×5, first 2 shown]
	v_accvgpr_read_b32 v179, a85
	v_accvgpr_read_b32 v173, a79
	;; [unrolled: 1-line block ×4, first 2 shown]
	v_add_f64 v[100:101], v[244:245], -v[168:169]
	v_accvgpr_write_b32 a127, v181
	v_accvgpr_write_b32 a128, v182
	;; [unrolled: 1-line block ×3, first 2 shown]
	v_accvgpr_read_b32 v183, a89
	v_accvgpr_write_b32 a131, v185
	v_accvgpr_write_b32 a132, v186
	;; [unrolled: 1-line block ×3, first 2 shown]
	v_accvgpr_read_b32 v187, a93
	v_accvgpr_read_b32 v177, a83
	;; [unrolled: 1-line block ×4, first 2 shown]
	v_add_f64 v[72:73], v[248:249], -v[172:173]
	v_mul_f64 v[28:29], v[100:101], s[44:45]
	v_add_f64 v[66:67], v[246:247], v[170:171]
	v_accvgpr_read_b32 v181, a87
	v_accvgpr_read_b32 v180, a86
	;; [unrolled: 1-line block ×5, first 2 shown]
	v_add_f64 v[98:99], v[252:253], -v[176:177]
	v_mul_f64 v[24:25], v[72:73], s[34:35]
	v_add_f64 v[64:65], v[250:251], v[174:175]
	v_fma_f64 v[30:31], s[38:39], v[66:67], v[28:29]
	v_add_f64 v[116:117], v[246:247], -v[170:171]
	v_accvgpr_read_b32 v182, a88
	v_accvgpr_read_b32 v186, a92
	v_add_f64 v[96:97], v[180:181], -v[184:185]
	v_mul_f64 v[20:21], v[98:99], s[40:41]
	v_add_f64 v[62:63], v[254:255], v[178:179]
	v_fma_f64 v[26:27], s[0:1], v[64:65], v[24:25]
	v_add_f64 v[30:31], v[242:243], v[30:31]
	v_add_f64 v[114:115], v[250:251], -v[174:175]
	v_add_f64 v[86:87], v[244:245], v[168:169]
	v_mul_f64 v[44:45], v[116:117], s[44:45]
	v_add_f64 v[94:95], v[188:189], -v[192:193]
	v_mul_f64 v[16:17], v[96:97], s[48:49]
	v_add_f64 v[60:61], v[182:183], v[186:187]
	v_fma_f64 v[22:23], s[30:31], v[62:63], v[20:21]
	v_add_f64 v[26:27], v[26:27], v[30:31]
	v_add_f64 v[112:113], v[254:255], -v[178:179]
	v_add_f64 v[84:85], v[248:249], v[172:173]
	v_mul_f64 v[40:41], v[114:115], s[34:35]
	v_fma_f64 v[46:47], v[86:87], s[38:39], -v[44:45]
	v_add_f64 v[92:93], v[196:197], -v[200:201]
	v_mul_f64 v[12:13], v[94:95], s[36:37]
	v_add_f64 v[58:59], v[190:191], v[194:195]
	v_fma_f64 v[18:19], s[8:9], v[60:61], v[16:17]
	v_add_f64 v[22:23], v[22:23], v[26:27]
	v_add_f64 v[110:111], v[182:183], -v[186:187]
	v_add_f64 v[76:77], v[252:253], v[176:177]
	v_mul_f64 v[36:37], v[112:113], s[40:41]
	v_fma_f64 v[42:43], v[84:85], s[0:1], -v[40:41]
	v_add_f64 v[46:47], v[240:241], v[46:47]
	v_add_f64 v[90:91], v[204:205], -v[208:209]
	v_mul_f64 v[8:9], v[92:93], s[42:43]
	v_add_f64 v[56:57], v[198:199], v[202:203]
	v_fma_f64 v[14:15], s[26:27], v[58:59], v[12:13]
	v_add_f64 v[18:19], v[18:19], v[22:23]
	v_add_f64 v[108:109], v[190:191], -v[194:195]
	v_add_f64 v[82:83], v[180:181], v[184:185]
	v_mul_f64 v[32:33], v[110:111], s[48:49]
	v_fma_f64 v[38:39], v[76:77], s[30:31], -v[36:37]
	v_add_f64 v[42:43], v[42:43], v[46:47]
	;; [unrolled: 10-line block ×3, first 2 shown]
	v_mul_f64 v[0:1], v[88:89], s[56:57]
	v_add_f64 v[52:53], v[214:215], v[218:219]
	v_fma_f64 v[6:7], s[22:23], v[54:55], v[4:5]
	v_add_f64 v[10:11], v[10:11], v[14:15]
	v_add_f64 v[104:105], v[206:207], -v[210:211]
	v_add_f64 v[78:79], v[196:197], v[200:201]
	v_mul_f64 v[18:19], v[106:107], s[42:43]
	v_fma_f64 v[30:31], v[80:81], s[26:27], -v[26:27]
	v_add_f64 v[34:35], v[34:35], v[38:39]
	v_fma_f64 v[2:3], s[18:19], v[52:53], v[0:1]
	v_add_f64 v[6:7], v[6:7], v[10:11]
	v_add_f64 v[102:103], v[214:215], -v[218:219]
	v_add_f64 v[70:71], v[204:205], v[208:209]
	v_mul_f64 v[10:11], v[104:105], s[28:29]
	v_fma_f64 v[22:23], v[78:79], s[14:15], -v[18:19]
	v_add_f64 v[30:31], v[30:31], v[34:35]
	v_add_f64 v[48:49], v[2:3], v[6:7]
	;; [unrolled: 1-line block ×3, first 2 shown]
	v_mul_f64 v[2:3], v[102:103], s[56:57]
	v_fma_f64 v[14:15], v[70:71], s[22:23], -v[10:11]
	v_add_f64 v[22:23], v[22:23], v[30:31]
	v_fma_f64 v[6:7], v[68:69], s[18:19], -v[2:3]
	v_add_f64 v[14:15], v[14:15], v[22:23]
	v_add_f64 v[46:47], v[6:7], v[14:15]
	v_fma_f64 v[14:15], v[62:63], s[30:31], -v[20:21]
	v_fma_f64 v[20:21], v[66:67], s[38:39], -v[28:29]
	v_fma_f64 v[6:7], v[56:57], s[14:15], -v[8:9]
	v_fma_f64 v[8:9], v[58:59], s[26:27], -v[12:13]
	v_fma_f64 v[12:13], v[60:61], s[8:9], -v[16:17]
	v_fma_f64 v[16:17], v[64:65], s[0:1], -v[24:25]
	v_add_f64 v[20:21], v[242:243], v[20:21]
	v_add_f64 v[16:17], v[16:17], v[20:21]
	;; [unrolled: 1-line block ×5, first 2 shown]
	v_fma_f64 v[4:5], v[54:55], s[22:23], -v[4:5]
	v_add_f64 v[6:7], v[6:7], v[8:9]
	v_fma_f64 v[0:1], v[52:53], s[18:19], -v[0:1]
	v_add_f64 v[4:5], v[4:5], v[6:7]
	v_fmac_f64_e32 v[44:45], s[38:39], v[86:87]
	v_add_f64 v[4:5], v[0:1], v[4:5]
	v_fmac_f64_e32 v[40:41], s[0:1], v[84:85]
	;; [unrolled: 2-line block ×4, first 2 shown]
	v_add_f64 v[0:1], v[36:37], v[0:1]
	v_add_f64 v[0:1], v[32:33], v[0:1]
	v_mul_f64 v[32:33], v[100:101], s[40:41]
	v_mul_f64 v[28:29], v[72:73], s[42:43]
	v_fma_f64 v[34:35], s[30:31], v[66:67], v[32:33]
	v_accvgpr_write_b32 a175, v49
	v_fmac_f64_e32 v[26:27], s[26:27], v[80:81]
	v_mul_f64 v[24:25], v[98:99], s[24:25]
	v_fma_f64 v[30:31], s[14:15], v[64:65], v[28:29]
	v_add_f64 v[34:35], v[242:243], v[34:35]
	v_mul_f64 v[50:51], v[116:117], s[40:41]
	v_accvgpr_write_b32 a174, v48
	v_accvgpr_write_b32 a173, v47
	;; [unrolled: 1-line block ×3, first 2 shown]
	v_add_f64 v[0:1], v[26:27], v[0:1]
	v_mul_f64 v[20:21], v[96:97], s[54:55]
	v_fma_f64 v[26:27], s[18:19], v[62:63], v[24:25]
	v_add_f64 v[30:31], v[30:31], v[34:35]
	v_mul_f64 v[46:47], v[114:115], s[42:43]
	v_fma_f64 v[74:75], v[86:87], s[30:31], -v[50:51]
	v_fmac_f64_e32 v[18:19], s[14:15], v[78:79]
	v_mul_f64 v[16:17], v[94:95], s[12:13]
	v_fma_f64 v[22:23], s[26:27], v[60:61], v[20:21]
	v_add_f64 v[26:27], v[26:27], v[30:31]
	v_mul_f64 v[42:43], v[112:113], s[24:25]
	v_fma_f64 v[48:49], v[84:85], s[14:15], -v[46:47]
	v_add_f64 v[74:75], v[240:241], v[74:75]
	v_fmac_f64_e32 v[10:11], s[22:23], v[70:71]
	v_add_f64 v[0:1], v[18:19], v[0:1]
	v_mul_f64 v[14:15], v[92:93], s[44:45]
	v_fma_f64 v[18:19], s[0:1], v[58:59], v[16:17]
	v_add_f64 v[22:23], v[22:23], v[26:27]
	v_mul_f64 v[38:39], v[110:111], s[54:55]
	v_fma_f64 v[44:45], v[76:77], s[18:19], -v[42:43]
	v_add_f64 v[48:49], v[48:49], v[74:75]
	v_fmac_f64_e32 v[2:3], s[18:19], v[68:69]
	v_add_f64 v[0:1], v[10:11], v[0:1]
	v_mul_f64 v[12:13], v[90:91], s[48:49]
	v_fma_f64 v[10:11], s[38:39], v[56:57], v[14:15]
	v_add_f64 v[18:19], v[18:19], v[22:23]
	v_mul_f64 v[34:35], v[108:109], s[12:13]
	v_fma_f64 v[40:41], v[82:83], s[26:27], -v[38:39]
	v_add_f64 v[44:45], v[44:45], v[48:49]
	v_add_f64 v[2:3], v[2:3], v[0:1]
	v_accvgpr_write_b32 a179, v5
	v_mul_f64 v[0:1], v[88:89], s[28:29]
	v_fma_f64 v[8:9], s[8:9], v[54:55], v[12:13]
	v_add_f64 v[10:11], v[10:11], v[18:19]
	v_mul_f64 v[26:27], v[106:107], s[44:45]
	v_fma_f64 v[36:37], v[80:81], s[0:1], -v[34:35]
	v_add_f64 v[40:41], v[40:41], v[44:45]
	v_accvgpr_write_b32 a178, v4
	v_accvgpr_write_b32 a177, v3
	;; [unrolled: 1-line block ×3, first 2 shown]
	v_fma_f64 v[2:3], s[22:23], v[52:53], v[0:1]
	v_add_f64 v[8:9], v[8:9], v[10:11]
	v_mul_f64 v[18:19], v[104:105], s[48:49]
	v_fma_f64 v[30:31], v[78:79], s[38:39], -v[26:27]
	v_add_f64 v[36:37], v[36:37], v[40:41]
	v_add_f64 v[10:11], v[2:3], v[8:9]
	v_mul_f64 v[2:3], v[102:103], s[28:29]
	v_fma_f64 v[22:23], v[70:71], s[8:9], -v[18:19]
	v_add_f64 v[30:31], v[30:31], v[36:37]
	v_fma_f64 v[8:9], v[68:69], s[22:23], -v[2:3]
	v_add_f64 v[22:23], v[22:23], v[30:31]
	v_add_f64 v[8:9], v[8:9], v[22:23]
	v_fma_f64 v[22:23], v[62:63], s[18:19], -v[24:25]
	v_fma_f64 v[24:25], v[64:65], s[14:15], -v[28:29]
	;; [unrolled: 1-line block ×3, first 2 shown]
	v_add_f64 v[28:29], v[242:243], v[28:29]
	v_add_f64 v[24:25], v[24:25], v[28:29]
	v_fma_f64 v[20:21], v[60:61], s[26:27], -v[20:21]
	v_add_f64 v[22:23], v[22:23], v[24:25]
	v_fma_f64 v[16:17], v[58:59], s[0:1], -v[16:17]
	;; [unrolled: 2-line block ×5, first 2 shown]
	v_add_f64 v[12:13], v[12:13], v[14:15]
	v_fmac_f64_e32 v[50:51], s[30:31], v[86:87]
	v_add_f64 v[14:15], v[0:1], v[12:13]
	v_fmac_f64_e32 v[46:47], s[14:15], v[84:85]
	;; [unrolled: 2-line block ×3, first 2 shown]
	v_add_f64 v[0:1], v[46:47], v[0:1]
	v_mul_f64 v[40:41], v[100:101], s[36:37]
	v_fmac_f64_e32 v[38:39], s[26:27], v[82:83]
	v_add_f64 v[0:1], v[42:43], v[0:1]
	v_mul_f64 v[36:37], v[72:73], s[46:47]
	v_fma_f64 v[42:43], s[26:27], v[66:67], v[40:41]
	v_fmac_f64_e32 v[34:35], s[0:1], v[80:81]
	v_add_f64 v[0:1], v[38:39], v[0:1]
	v_mul_f64 v[32:33], v[98:99], s[12:13]
	v_fma_f64 v[38:39], s[22:23], v[64:65], v[36:37]
	v_add_f64 v[42:43], v[242:243], v[42:43]
	v_mul_f64 v[132:133], v[116:117], s[36:37]
	v_add_f64 v[0:1], v[34:35], v[0:1]
	v_mul_f64 v[28:29], v[96:97], s[40:41]
	v_fma_f64 v[34:35], s[0:1], v[62:63], v[32:33]
	v_add_f64 v[38:39], v[38:39], v[42:43]
	v_mul_f64 v[128:129], v[114:115], s[46:47]
	v_fma_f64 v[134:135], v[86:87], s[26:27], -v[132:133]
	v_fmac_f64_e32 v[26:27], s[38:39], v[78:79]
	v_mul_f64 v[24:25], v[94:95], s[56:57]
	v_fma_f64 v[30:31], s[30:31], v[60:61], v[28:29]
	v_add_f64 v[34:35], v[34:35], v[38:39]
	v_mul_f64 v[50:51], v[112:113], s[12:13]
	v_fma_f64 v[130:131], v[84:85], s[22:23], -v[128:129]
	v_add_f64 v[134:135], v[240:241], v[134:135]
	v_fmac_f64_e32 v[18:19], s[8:9], v[70:71]
	v_add_f64 v[0:1], v[26:27], v[0:1]
	v_mul_f64 v[22:23], v[92:93], s[16:17]
	v_fma_f64 v[26:27], s[18:19], v[58:59], v[24:25]
	v_add_f64 v[30:31], v[30:31], v[34:35]
	v_mul_f64 v[46:47], v[110:111], s[40:41]
	v_fma_f64 v[74:75], v[76:77], s[0:1], -v[50:51]
	v_add_f64 v[130:131], v[130:131], v[134:135]
	v_fmac_f64_e32 v[2:3], s[22:23], v[68:69]
	v_add_f64 v[0:1], v[18:19], v[0:1]
	v_mul_f64 v[20:21], v[90:91], s[44:45]
	v_fma_f64 v[18:19], s[8:9], v[56:57], v[22:23]
	v_add_f64 v[26:27], v[26:27], v[30:31]
	v_mul_f64 v[42:43], v[108:109], s[56:57]
	v_fma_f64 v[48:49], v[82:83], s[30:31], -v[46:47]
	v_add_f64 v[74:75], v[74:75], v[130:131]
	v_add_f64 v[12:13], v[2:3], v[0:1]
	v_mul_f64 v[0:1], v[88:89], s[42:43]
	v_fma_f64 v[16:17], s[38:39], v[54:55], v[20:21]
	v_add_f64 v[18:19], v[18:19], v[26:27]
	v_mul_f64 v[34:35], v[106:107], s[16:17]
	v_fma_f64 v[44:45], v[80:81], s[18:19], -v[42:43]
	v_add_f64 v[48:49], v[48:49], v[74:75]
	v_fma_f64 v[2:3], s[14:15], v[52:53], v[0:1]
	v_add_f64 v[16:17], v[16:17], v[18:19]
	v_mul_f64 v[26:27], v[104:105], s[44:45]
	v_fma_f64 v[38:39], v[78:79], s[8:9], -v[34:35]
	v_add_f64 v[44:45], v[44:45], v[48:49]
	v_add_f64 v[18:19], v[2:3], v[16:17]
	v_mul_f64 v[2:3], v[102:103], s[42:43]
	v_fma_f64 v[30:31], v[70:71], s[38:39], -v[26:27]
	v_add_f64 v[38:39], v[38:39], v[44:45]
	v_fma_f64 v[16:17], v[68:69], s[14:15], -v[2:3]
	v_add_f64 v[30:31], v[30:31], v[38:39]
	v_add_f64 v[16:17], v[16:17], v[30:31]
	v_fma_f64 v[30:31], v[62:63], s[0:1], -v[32:33]
	v_fma_f64 v[32:33], v[64:65], s[22:23], -v[36:37]
	;; [unrolled: 1-line block ×3, first 2 shown]
	v_add_f64 v[36:37], v[242:243], v[36:37]
	v_add_f64 v[32:33], v[32:33], v[36:37]
	v_fma_f64 v[28:29], v[60:61], s[30:31], -v[28:29]
	v_add_f64 v[30:31], v[30:31], v[32:33]
	v_fma_f64 v[24:25], v[58:59], s[18:19], -v[24:25]
	;; [unrolled: 2-line block ×5, first 2 shown]
	v_add_f64 v[20:21], v[20:21], v[22:23]
	v_fmac_f64_e32 v[132:133], s[26:27], v[86:87]
	v_add_f64 v[22:23], v[0:1], v[20:21]
	v_fmac_f64_e32 v[128:129], s[22:23], v[84:85]
	;; [unrolled: 2-line block ×3, first 2 shown]
	v_add_f64 v[0:1], v[128:129], v[0:1]
	v_mul_f64 v[48:49], v[100:101], s[28:29]
	v_fmac_f64_e32 v[46:47], s[30:31], v[82:83]
	v_add_f64 v[0:1], v[50:51], v[0:1]
	v_mul_f64 v[44:45], v[72:73], s[50:51]
	v_fma_f64 v[50:51], s[22:23], v[66:67], v[48:49]
	v_fmac_f64_e32 v[42:43], s[18:19], v[80:81]
	v_add_f64 v[0:1], v[46:47], v[0:1]
	v_mul_f64 v[40:41], v[98:99], s[48:49]
	v_fma_f64 v[46:47], s[30:31], v[64:65], v[44:45]
	v_add_f64 v[50:51], v[242:243], v[50:51]
	v_mul_f64 v[140:141], v[116:117], s[28:29]
	v_add_f64 v[0:1], v[42:43], v[0:1]
	v_mul_f64 v[36:37], v[96:97], s[20:21]
	v_fma_f64 v[42:43], s[8:9], v[62:63], v[40:41]
	v_add_f64 v[46:47], v[46:47], v[50:51]
	v_mul_f64 v[136:137], v[114:115], s[50:51]
	v_fma_f64 v[142:143], v[86:87], s[22:23], -v[140:141]
	v_fmac_f64_e32 v[34:35], s[8:9], v[78:79]
	v_mul_f64 v[32:33], v[94:95], s[44:45]
	v_fma_f64 v[38:39], s[14:15], v[60:61], v[36:37]
	v_add_f64 v[42:43], v[42:43], v[46:47]
	v_mul_f64 v[132:133], v[112:113], s[48:49]
	v_fma_f64 v[138:139], v[84:85], s[30:31], -v[136:137]
	v_add_f64 v[142:143], v[240:241], v[142:143]
	v_fmac_f64_e32 v[26:27], s[38:39], v[70:71]
	v_add_f64 v[0:1], v[34:35], v[0:1]
	v_mul_f64 v[30:31], v[92:93], s[56:57]
	v_fma_f64 v[34:35], s[38:39], v[58:59], v[32:33]
	v_add_f64 v[38:39], v[38:39], v[42:43]
	v_mul_f64 v[128:129], v[110:111], s[20:21]
	v_fma_f64 v[134:135], v[76:77], s[8:9], -v[132:133]
	v_add_f64 v[138:139], v[138:139], v[142:143]
	v_fmac_f64_e32 v[2:3], s[14:15], v[68:69]
	v_add_f64 v[0:1], v[26:27], v[0:1]
	v_mul_f64 v[28:29], v[90:91], s[12:13]
	v_fma_f64 v[26:27], s[18:19], v[56:57], v[30:31]
	v_add_f64 v[34:35], v[34:35], v[38:39]
	v_mul_f64 v[50:51], v[108:109], s[44:45]
	v_fma_f64 v[130:131], v[82:83], s[14:15], -v[128:129]
	v_add_f64 v[134:135], v[134:135], v[138:139]
	v_add_f64 v[20:21], v[2:3], v[0:1]
	v_mul_f64 v[0:1], v[88:89], s[36:37]
	v_fma_f64 v[24:25], s[0:1], v[54:55], v[28:29]
	v_add_f64 v[26:27], v[26:27], v[34:35]
	v_mul_f64 v[42:43], v[106:107], s[56:57]
	v_fma_f64 v[74:75], v[80:81], s[38:39], -v[50:51]
	v_add_f64 v[130:131], v[130:131], v[134:135]
	v_fma_f64 v[2:3], s[26:27], v[52:53], v[0:1]
	v_add_f64 v[24:25], v[24:25], v[26:27]
	v_mul_f64 v[34:35], v[104:105], s[12:13]
	v_fma_f64 v[46:47], v[78:79], s[18:19], -v[42:43]
	v_add_f64 v[74:75], v[74:75], v[130:131]
	v_add_f64 v[26:27], v[2:3], v[24:25]
	v_mul_f64 v[2:3], v[102:103], s[36:37]
	v_fma_f64 v[38:39], v[70:71], s[0:1], -v[34:35]
	v_add_f64 v[46:47], v[46:47], v[74:75]
	v_fma_f64 v[24:25], v[68:69], s[26:27], -v[2:3]
	v_add_f64 v[38:39], v[38:39], v[46:47]
	v_add_f64 v[24:25], v[24:25], v[38:39]
	v_fma_f64 v[38:39], v[62:63], s[8:9], -v[40:41]
	v_fma_f64 v[40:41], v[64:65], s[30:31], -v[44:45]
	;; [unrolled: 1-line block ×3, first 2 shown]
	v_add_f64 v[44:45], v[242:243], v[44:45]
	v_add_f64 v[40:41], v[40:41], v[44:45]
	v_fma_f64 v[36:37], v[60:61], s[14:15], -v[36:37]
	v_add_f64 v[38:39], v[38:39], v[40:41]
	v_fma_f64 v[32:33], v[58:59], s[38:39], -v[32:33]
	;; [unrolled: 2-line block ×5, first 2 shown]
	v_add_f64 v[28:29], v[28:29], v[30:31]
	v_fmac_f64_e32 v[140:141], s[22:23], v[86:87]
	v_add_f64 v[30:31], v[0:1], v[28:29]
	v_fmac_f64_e32 v[136:137], s[30:31], v[84:85]
	;; [unrolled: 2-line block ×3, first 2 shown]
	v_add_f64 v[0:1], v[136:137], v[0:1]
	v_mul_f64 v[130:131], v[100:101], s[24:25]
	v_fmac_f64_e32 v[128:129], s[14:15], v[82:83]
	v_add_f64 v[0:1], v[132:133], v[0:1]
	v_mul_f64 v[74:75], v[72:73], s[44:45]
	v_fma_f64 v[132:133], s[18:19], v[66:67], v[130:131]
	v_accvgpr_write_b32 a74, v146
	v_fmac_f64_e32 v[50:51], s[38:39], v[80:81]
	v_add_f64 v[0:1], v[128:129], v[0:1]
	v_mul_f64 v[48:49], v[98:99], s[46:47]
	v_fma_f64 v[128:129], s[38:39], v[64:65], v[74:75]
	v_add_f64 v[132:133], v[242:243], v[132:133]
	v_accvgpr_write_b32 a75, v147
	v_accvgpr_write_b32 a76, v148
	;; [unrolled: 1-line block ×3, first 2 shown]
	v_mul_f64 v[148:149], v[116:117], s[24:25]
	v_add_f64 v[0:1], v[50:51], v[0:1]
	v_mul_f64 v[44:45], v[96:97], s[34:35]
	v_fma_f64 v[50:51], s[22:23], v[62:63], v[48:49]
	v_add_f64 v[128:129], v[128:129], v[132:133]
	v_mov_b32_e32 v6, v119
	v_mov_b32_e32 v119, v144
	;; [unrolled: 1-line block ×3, first 2 shown]
	v_mul_f64 v[144:145], v[114:115], s[44:45]
	v_mov_b32_e32 v5, v151
	v_fma_f64 v[150:151], v[86:87], s[18:19], -v[148:149]
	v_fmac_f64_e32 v[42:43], s[18:19], v[78:79]
	v_mul_f64 v[40:41], v[94:95], s[20:21]
	v_fma_f64 v[46:47], s[0:1], v[60:61], v[44:45]
	v_add_f64 v[50:51], v[50:51], v[128:129]
	v_mul_f64 v[140:141], v[112:113], s[46:47]
	v_fma_f64 v[146:147], v[84:85], s[38:39], -v[144:145]
	v_add_f64 v[150:151], v[240:241], v[150:151]
	v_fmac_f64_e32 v[34:35], s[0:1], v[70:71]
	v_add_f64 v[0:1], v[42:43], v[0:1]
	v_mul_f64 v[38:39], v[92:93], s[40:41]
	v_fma_f64 v[42:43], s[14:15], v[58:59], v[40:41]
	v_add_f64 v[46:47], v[46:47], v[50:51]
	v_mul_f64 v[136:137], v[110:111], s[34:35]
	v_fma_f64 v[142:143], v[76:77], s[22:23], -v[140:141]
	v_add_f64 v[146:147], v[146:147], v[150:151]
	v_fmac_f64_e32 v[2:3], s[26:27], v[68:69]
	v_add_f64 v[0:1], v[34:35], v[0:1]
	v_mul_f64 v[36:37], v[90:91], s[54:55]
	v_fma_f64 v[34:35], s[30:31], v[56:57], v[38:39]
	v_add_f64 v[42:43], v[42:43], v[46:47]
	v_mul_f64 v[132:133], v[108:109], s[20:21]
	v_fma_f64 v[138:139], v[82:83], s[0:1], -v[136:137]
	v_add_f64 v[142:143], v[142:143], v[146:147]
	v_add_f64 v[28:29], v[2:3], v[0:1]
	v_mul_f64 v[0:1], v[88:89], s[48:49]
	v_fma_f64 v[32:33], s[26:27], v[54:55], v[36:37]
	v_add_f64 v[34:35], v[34:35], v[42:43]
	v_mul_f64 v[50:51], v[106:107], s[40:41]
	v_fma_f64 v[134:135], v[80:81], s[14:15], -v[132:133]
	v_add_f64 v[138:139], v[138:139], v[142:143]
	v_fma_f64 v[2:3], s[8:9], v[52:53], v[0:1]
	v_add_f64 v[32:33], v[32:33], v[34:35]
	v_mul_f64 v[42:43], v[104:105], s[54:55]
	v_fma_f64 v[128:129], v[78:79], s[30:31], -v[50:51]
	v_add_f64 v[134:135], v[134:135], v[138:139]
	v_add_f64 v[34:35], v[2:3], v[32:33]
	v_mul_f64 v[2:3], v[102:103], s[48:49]
	v_fma_f64 v[46:47], v[70:71], s[26:27], -v[42:43]
	v_add_f64 v[128:129], v[128:129], v[134:135]
	v_fma_f64 v[32:33], v[68:69], s[8:9], -v[2:3]
	v_add_f64 v[46:47], v[46:47], v[128:129]
	v_add_f64 v[32:33], v[32:33], v[46:47]
	v_fma_f64 v[46:47], v[62:63], s[22:23], -v[48:49]
	v_fma_f64 v[48:49], v[64:65], s[38:39], -v[74:75]
	;; [unrolled: 1-line block ×3, first 2 shown]
	v_add_f64 v[74:75], v[242:243], v[74:75]
	v_add_f64 v[48:49], v[48:49], v[74:75]
	v_fma_f64 v[44:45], v[60:61], s[0:1], -v[44:45]
	v_add_f64 v[46:47], v[46:47], v[48:49]
	v_fma_f64 v[40:41], v[58:59], s[14:15], -v[40:41]
	;; [unrolled: 2-line block ×5, first 2 shown]
	v_add_f64 v[36:37], v[36:37], v[38:39]
	v_fmac_f64_e32 v[148:149], s[18:19], v[86:87]
	v_add_f64 v[38:39], v[0:1], v[36:37]
	v_fmac_f64_e32 v[144:145], s[38:39], v[84:85]
	;; [unrolled: 2-line block ×3, first 2 shown]
	v_add_f64 v[0:1], v[144:145], v[0:1]
	v_mul_f64 v[138:139], v[100:101], s[20:21]
	v_fmac_f64_e32 v[136:137], s[0:1], v[82:83]
	v_add_f64 v[0:1], v[140:141], v[0:1]
	v_mul_f64 v[134:135], v[72:73], s[36:37]
	v_fma_f64 v[140:141], s[14:15], v[66:67], v[138:139]
	v_accvgpr_write_b32 a82, v156
	v_fmac_f64_e32 v[132:133], s[14:15], v[80:81]
	v_add_f64 v[0:1], v[136:137], v[0:1]
	v_mul_f64 v[130:131], v[98:99], s[52:53]
	v_fma_f64 v[136:137], s[26:27], v[64:65], v[134:135]
	v_add_f64 v[140:141], v[242:243], v[140:141]
	v_accvgpr_write_b32 a78, v152
	v_accvgpr_write_b32 a83, v157
	;; [unrolled: 1-line block ×4, first 2 shown]
	v_mul_f64 v[156:157], v[116:117], s[20:21]
	v_add_f64 v[0:1], v[132:133], v[0:1]
	v_mul_f64 v[74:75], v[96:97], s[46:47]
	v_fma_f64 v[132:133], s[38:39], v[62:63], v[130:131]
	v_add_f64 v[136:137], v[136:137], v[140:141]
	v_accvgpr_write_b32 a79, v153
	v_accvgpr_write_b32 a80, v154
	v_accvgpr_write_b32 a81, v155
	v_mul_f64 v[152:153], v[114:115], s[36:37]
	v_fma_f64 v[158:159], v[86:87], s[14:15], -v[156:157]
	v_fmac_f64_e32 v[50:51], s[30:31], v[78:79]
	v_mul_f64 v[48:49], v[94:95], s[48:49]
	v_fma_f64 v[128:129], s[22:23], v[60:61], v[74:75]
	v_add_f64 v[132:133], v[132:133], v[136:137]
	v_mul_f64 v[148:149], v[112:113], s[52:53]
	v_fma_f64 v[154:155], v[84:85], s[26:27], -v[152:153]
	v_add_f64 v[158:159], v[240:241], v[158:159]
	v_fmac_f64_e32 v[42:43], s[26:27], v[70:71]
	v_add_f64 v[0:1], v[50:51], v[0:1]
	v_mul_f64 v[46:47], v[92:93], s[12:13]
	v_fma_f64 v[50:51], s[8:9], v[58:59], v[48:49]
	v_add_f64 v[128:129], v[128:129], v[132:133]
	v_mul_f64 v[144:145], v[110:111], s[46:47]
	v_fma_f64 v[150:151], v[76:77], s[38:39], -v[148:149]
	v_add_f64 v[154:155], v[154:155], v[158:159]
	v_fmac_f64_e32 v[2:3], s[8:9], v[68:69]
	v_add_f64 v[0:1], v[42:43], v[0:1]
	v_mul_f64 v[44:45], v[90:91], s[24:25]
	v_fma_f64 v[42:43], s[0:1], v[56:57], v[46:47]
	v_add_f64 v[50:51], v[50:51], v[128:129]
	v_mul_f64 v[140:141], v[108:109], s[48:49]
	v_fma_f64 v[146:147], v[82:83], s[22:23], -v[144:145]
	v_add_f64 v[150:151], v[150:151], v[154:155]
	v_add_f64 v[36:37], v[2:3], v[0:1]
	v_mul_f64 v[0:1], v[88:89], s[40:41]
	v_fma_f64 v[40:41], s[18:19], v[54:55], v[44:45]
	v_add_f64 v[42:43], v[42:43], v[50:51]
	v_mul_f64 v[132:133], v[106:107], s[12:13]
	v_fma_f64 v[142:143], v[80:81], s[8:9], -v[140:141]
	v_add_f64 v[146:147], v[146:147], v[150:151]
	v_fma_f64 v[2:3], s[30:31], v[52:53], v[0:1]
	v_add_f64 v[40:41], v[40:41], v[42:43]
	v_mul_f64 v[128:129], v[104:105], s[24:25]
	v_fma_f64 v[136:137], v[78:79], s[0:1], -v[132:133]
	v_add_f64 v[142:143], v[142:143], v[146:147]
	v_add_f64 v[42:43], v[2:3], v[40:41]
	v_mul_f64 v[2:3], v[102:103], s[40:41]
	v_fma_f64 v[50:51], v[70:71], s[18:19], -v[128:129]
	v_add_f64 v[136:137], v[136:137], v[142:143]
	v_fma_f64 v[40:41], v[68:69], s[30:31], -v[2:3]
	v_add_f64 v[50:51], v[50:51], v[136:137]
	v_add_f64 v[40:41], v[40:41], v[50:51]
	v_fma_f64 v[50:51], v[60:61], s[22:23], -v[74:75]
	v_fma_f64 v[74:75], v[62:63], s[38:39], -v[130:131]
	;; [unrolled: 1-line block ×4, first 2 shown]
	v_add_f64 v[134:135], v[242:243], v[134:135]
	v_add_f64 v[130:131], v[130:131], v[134:135]
	;; [unrolled: 1-line block ×3, first 2 shown]
	v_fma_f64 v[48:49], v[58:59], s[8:9], -v[48:49]
	v_add_f64 v[50:51], v[50:51], v[74:75]
	v_fma_f64 v[46:47], v[56:57], s[0:1], -v[46:47]
	v_add_f64 v[48:49], v[48:49], v[50:51]
	;; [unrolled: 2-line block ×4, first 2 shown]
	v_fmac_f64_e32 v[156:157], s[14:15], v[86:87]
	v_add_f64 v[50:51], v[0:1], v[44:45]
	v_fmac_f64_e32 v[152:153], s[26:27], v[84:85]
	v_add_f64 v[0:1], v[240:241], v[156:157]
	;; [unrolled: 2-line block ×3, first 2 shown]
	v_mul_f64 v[146:147], v[100:101], s[16:17]
	v_fmac_f64_e32 v[144:145], s[22:23], v[82:83]
	v_add_f64 v[0:1], v[148:149], v[0:1]
	v_mul_f64 v[142:143], v[72:73], s[24:25]
	v_fma_f64 v[148:149], s[8:9], v[66:67], v[146:147]
	v_accvgpr_write_b32 a90, v164
	v_fmac_f64_e32 v[140:141], s[8:9], v[80:81]
	v_add_f64 v[0:1], v[144:145], v[0:1]
	v_mul_f64 v[138:139], v[98:99], s[36:37]
	v_fma_f64 v[144:145], s[18:19], v[64:65], v[142:143]
	v_add_f64 v[148:149], v[242:243], v[148:149]
	v_accvgpr_write_b32 a86, v160
	v_accvgpr_write_b32 a91, v165
	v_accvgpr_write_b32 a92, v166
	v_accvgpr_write_b32 a93, v167
	v_mul_f64 v[164:165], v[116:117], s[16:17]
	v_fmac_f64_e32 v[132:133], s[0:1], v[78:79]
	v_add_f64 v[0:1], v[140:141], v[0:1]
	v_mul_f64 v[134:135], v[96:97], s[44:45]
	v_fma_f64 v[140:141], s[26:27], v[62:63], v[138:139]
	v_add_f64 v[144:145], v[144:145], v[148:149]
	v_accvgpr_write_b32 a87, v161
	v_accvgpr_write_b32 a88, v162
	;; [unrolled: 1-line block ×3, first 2 shown]
	v_mul_f64 v[160:161], v[114:115], s[24:25]
	v_fma_f64 v[166:167], v[86:87], s[8:9], -v[164:165]
	v_fmac_f64_e32 v[128:129], s[18:19], v[70:71]
	v_add_f64 v[0:1], v[132:133], v[0:1]
	v_mul_f64 v[130:131], v[94:95], s[50:51]
	v_fma_f64 v[136:137], s[38:39], v[60:61], v[134:135]
	v_add_f64 v[140:141], v[140:141], v[144:145]
	v_mul_f64 v[156:157], v[112:113], s[36:37]
	v_fma_f64 v[162:163], v[84:85], s[18:19], -v[160:161]
	v_add_f64 v[166:167], v[240:241], v[166:167]
	v_add_f64 v[0:1], v[128:129], v[0:1]
	v_mul_f64 v[128:129], v[92:93], s[46:47]
	v_fma_f64 v[132:133], s[30:31], v[58:59], v[130:131]
	v_add_f64 v[136:137], v[136:137], v[140:141]
	v_mul_f64 v[152:153], v[110:111], s[44:45]
	v_fma_f64 v[158:159], v[76:77], s[26:27], -v[156:157]
	v_add_f64 v[162:163], v[162:163], v[166:167]
	v_fmac_f64_e32 v[2:3], s[30:31], v[68:69]
	v_mul_f64 v[74:75], v[90:91], s[42:43]
	v_fma_f64 v[46:47], s[22:23], v[56:57], v[128:129]
	v_add_f64 v[132:133], v[132:133], v[136:137]
	v_mul_f64 v[148:149], v[108:109], s[50:51]
	v_fma_f64 v[154:155], v[82:83], s[38:39], -v[152:153]
	v_add_f64 v[158:159], v[158:159], v[162:163]
	v_add_f64 v[48:49], v[2:3], v[0:1]
	v_mul_f64 v[0:1], v[88:89], s[34:35]
	v_fma_f64 v[44:45], s[14:15], v[54:55], v[74:75]
	v_add_f64 v[46:47], v[46:47], v[132:133]
	v_mul_f64 v[140:141], v[106:107], s[46:47]
	v_fma_f64 v[150:151], v[80:81], s[30:31], -v[148:149]
	v_add_f64 v[154:155], v[154:155], v[158:159]
	v_fma_f64 v[2:3], s[0:1], v[52:53], v[0:1]
	v_add_f64 v[44:45], v[44:45], v[46:47]
	v_mul_f64 v[136:137], v[104:105], s[42:43]
	v_fma_f64 v[144:145], v[78:79], s[22:23], -v[140:141]
	v_add_f64 v[150:151], v[150:151], v[154:155]
	v_add_f64 v[46:47], v[2:3], v[44:45]
	v_mul_f64 v[132:133], v[102:103], s[34:35]
	v_fma_f64 v[44:45], v[70:71], s[14:15], -v[136:137]
	v_add_f64 v[144:145], v[144:145], v[150:151]
	v_fma_f64 v[2:3], v[68:69], s[0:1], -v[132:133]
	v_add_f64 v[44:45], v[44:45], v[144:145]
	v_add_f64 v[44:45], v[2:3], v[44:45]
	v_fma_f64 v[2:3], v[54:55], s[14:15], -v[74:75]
	v_fma_f64 v[74:75], v[56:57], s[22:23], -v[128:129]
	;; [unrolled: 1-line block ×7, first 2 shown]
	v_add_f64 v[142:143], v[242:243], v[142:143]
	v_add_f64 v[138:139], v[138:139], v[142:143]
	v_add_f64 v[134:135], v[134:135], v[138:139]
	v_add_f64 v[130:131], v[130:131], v[134:135]
	v_add_f64 v[128:129], v[128:129], v[130:131]
	v_add_f64 v[74:75], v[74:75], v[128:129]
	v_fma_f64 v[0:1], v[52:53], s[0:1], -v[0:1]
	v_add_f64 v[2:3], v[2:3], v[74:75]
	v_fmac_f64_e32 v[164:165], s[8:9], v[86:87]
	v_add_f64 v[2:3], v[0:1], v[2:3]
	v_fmac_f64_e32 v[160:161], s[18:19], v[84:85]
	;; [unrolled: 2-line block ×6, first 2 shown]
	v_add_f64 v[0:1], v[148:149], v[0:1]
	v_mul_f64 v[100:101], v[100:101], s[12:13]
	v_add_f64 v[0:1], v[140:141], v[0:1]
	v_mul_f64 v[72:73], v[72:73], s[16:17]
	v_fma_f64 v[140:141], s[0:1], v[66:67], v[100:101]
	v_fma_f64 v[66:67], v[66:67], s[0:1], -v[100:101]
	v_fmac_f64_e32 v[136:137], s[14:15], v[70:71]
	v_mul_f64 v[98:99], v[98:99], s[20:21]
	v_fma_f64 v[138:139], s[8:9], v[64:65], v[72:73]
	v_fma_f64 v[64:65], v[64:65], s[8:9], -v[72:73]
	v_add_f64 v[66:67], v[242:243], v[66:67]
	v_add_f64 v[0:1], v[136:137], v[0:1]
	v_mul_f64 v[96:97], v[96:97], s[24:25]
	v_fma_f64 v[136:137], s[14:15], v[62:63], v[98:99]
	v_fma_f64 v[62:63], v[62:63], s[14:15], -v[98:99]
	v_add_f64 v[64:65], v[64:65], v[66:67]
	v_fmac_f64_e32 v[132:133], s[0:1], v[68:69]
	v_mul_f64 v[94:95], v[94:95], s[28:29]
	v_fma_f64 v[134:135], s[18:19], v[60:61], v[96:97]
	v_fma_f64 v[60:61], v[60:61], s[18:19], -v[96:97]
	v_add_f64 v[62:63], v[62:63], v[64:65]
	v_add_f64 v[0:1], v[132:133], v[0:1]
	v_mul_f64 v[92:93], v[92:93], s[36:37]
	v_fma_f64 v[132:133], s[22:23], v[58:59], v[94:95]
	v_fma_f64 v[58:59], v[58:59], s[22:23], -v[94:95]
	v_add_f64 v[60:61], v[60:61], v[62:63]
	v_mul_f64 v[128:129], v[90:91], s[40:41]
	v_fma_f64 v[130:131], s[26:27], v[56:57], v[92:93]
	v_fma_f64 v[56:57], v[56:57], s[26:27], -v[92:93]
	v_add_f64 v[58:59], v[58:59], v[60:61]
	v_fma_f64 v[90:91], s[30:31], v[54:55], v[128:129]
	v_fma_f64 v[54:55], v[54:55], s[30:31], -v[128:129]
	v_add_f64 v[56:57], v[56:57], v[58:59]
	v_add_f64 v[54:55], v[54:55], v[56:57]
	;; [unrolled: 1-line block ×25, first 2 shown]
	v_mul_f64 v[74:75], v[88:89], s[44:45]
	v_mul_f64 v[116:117], v[116:117], s[12:13]
	v_add_f64 v[56:57], v[56:57], v[212:213]
	v_fma_f64 v[88:89], s[38:39], v[52:53], v[74:75]
	v_add_f64 v[140:141], v[242:243], v[140:141]
	v_mul_f64 v[114:115], v[114:115], s[16:17]
	v_fma_f64 v[142:143], v[86:87], s[0:1], -v[116:117]
	v_fma_f64 v[52:53], v[52:53], s[38:39], -v[74:75]
	v_fmac_f64_e32 v[116:117], s[0:1], v[86:87]
	v_add_f64 v[56:57], v[56:57], v[216:217]
	v_add_f64 v[138:139], v[138:139], v[140:141]
	v_mul_f64 v[112:113], v[112:113], s[20:21]
	v_fma_f64 v[140:141], v[84:85], s[8:9], -v[114:115]
	v_add_f64 v[142:143], v[240:241], v[142:143]
	v_add_f64 v[54:55], v[52:53], v[54:55]
	v_fmac_f64_e32 v[114:115], s[8:9], v[84:85]
	v_add_f64 v[52:53], v[240:241], v[116:117]
	v_add_f64 v[56:57], v[56:57], v[208:209]
	v_add_f64 v[136:137], v[136:137], v[138:139]
	v_mul_f64 v[110:111], v[110:111], s[24:25]
	v_fma_f64 v[138:139], v[76:77], s[14:15], -v[112:113]
	v_add_f64 v[140:141], v[140:141], v[142:143]
	v_fmac_f64_e32 v[112:113], s[14:15], v[76:77]
	v_add_f64 v[52:53], v[114:115], v[52:53]
	v_add_f64 v[56:57], v[56:57], v[200:201]
	v_add_f64 v[134:135], v[134:135], v[136:137]
	v_mul_f64 v[108:109], v[108:109], s[28:29]
	v_fma_f64 v[136:137], v[82:83], s[18:19], -v[110:111]
	;; [unrolled: 7-line block ×4, first 2 shown]
	v_add_f64 v[134:135], v[134:135], v[136:137]
	v_fmac_f64_e32 v[106:107], s[26:27], v[78:79]
	v_add_f64 v[52:53], v[108:109], v[52:53]
	v_add_f64 v[56:57], v[56:57], v[176:177]
	v_accvgpr_read_b32 v167, a93
	v_accvgpr_read_b32 v163, a89
	;; [unrolled: 1-line block ×5, first 2 shown]
	v_add_f64 v[90:91], v[90:91], v[130:131]
	v_mul_f64 v[102:103], v[102:103], s[44:45]
	v_fma_f64 v[130:131], v[70:71], s[30:31], -v[104:105]
	v_add_f64 v[132:133], v[132:133], v[134:135]
	v_fmac_f64_e32 v[104:105], s[30:31], v[70:71]
	v_add_f64 v[52:53], v[106:107], v[52:53]
	v_accvgpr_read_b32 v183, a129
	v_accvgpr_read_b32 v197, a113
	;; [unrolled: 1-line block ×10, first 2 shown]
	v_add_f64 v[56:57], v[56:57], v[172:173]
	v_accvgpr_read_b32 v175, a99
	v_mov_b32_e32 v151, v5
	v_accvgpr_read_b32 v150, a0
	v_accvgpr_read_b32 v166, a92
	;; [unrolled: 1-line block ×16, first 2 shown]
	v_add_f64 v[90:91], v[88:89], v[90:91]
	v_fma_f64 v[88:89], v[68:69], s[38:39], -v[102:103]
	v_add_f64 v[130:131], v[130:131], v[132:133]
	v_fmac_f64_e32 v[102:103], s[38:39], v[68:69]
	v_add_f64 v[52:53], v[104:105], v[52:53]
	v_accvgpr_read_b32 v171, a95
	v_accvgpr_read_b32 v170, a94
	;; [unrolled: 1-line block ×36, first 2 shown]
	v_add_f64 v[56:57], v[56:57], v[168:169]
	v_accvgpr_read_b32 v169, a5
	v_accvgpr_read_b32 v168, a1
	v_lshl_add_u32 v60, v4, 4, v119
	v_mov_b32_e32 v119, v6
	v_add_f64 v[88:89], v[88:89], v[130:131]
	v_add_f64 v[52:53], v[102:103], v[52:53]
	ds_write_b128 v60, v[56:59]
	ds_write_b128 v60, v[52:55] offset:16
	ds_write_b128 v60, v[0:3] offset:32
	;; [unrolled: 1-line block ×16, first 2 shown]
.LBB0_13:
	s_or_b64 exec, exec, s[58:59]
	s_waitcnt lgkmcnt(0)
	s_barrier
	ds_read_b128 v[20:23], v118 offset:1904
	ds_read_b128 v[0:3], v118
	ds_read_b128 v[4:7], v118 offset:272
	ds_read_b128 v[24:27], v118 offset:3808
	;; [unrolled: 1-line block ×8, first 2 shown]
	s_waitcnt lgkmcnt(9)
	v_mul_f64 v[46:47], v[126:127], v[22:23]
	v_fmac_f64_e32 v[46:47], v[124:125], v[20:21]
	v_mul_f64 v[20:21], v[126:127], v[20:21]
	v_fma_f64 v[48:49], v[124:125], v[22:23], -v[20:21]
	s_waitcnt lgkmcnt(6)
	v_mul_f64 v[20:21], v[122:123], v[24:25]
	v_fma_f64 v[52:53], v[120:121], v[26:27], -v[20:21]
	s_waitcnt lgkmcnt(4)
	v_mul_f64 v[20:21], v[126:127], v[32:33]
	v_mul_f64 v[50:51], v[122:123], v[26:27]
	v_fma_f64 v[56:57], v[124:125], v[34:35], -v[20:21]
	v_mul_f64 v[20:21], v[122:123], v[28:29]
	v_fmac_f64_e32 v[50:51], v[120:121], v[24:25]
	v_fma_f64 v[60:61], v[120:121], v[30:31], -v[20:21]
	ds_read_b128 v[20:23], v118 offset:4352
	ds_read_b128 v[24:27], v118 offset:4624
	v_mul_f64 v[58:59], v[122:123], v[30:31]
	v_fmac_f64_e32 v[58:59], v[120:121], v[28:29]
	s_waitcnt lgkmcnt(5)
	v_mul_f64 v[28:29], v[154:155], v[42:43]
	s_waitcnt lgkmcnt(1)
	v_mul_f64 v[66:67], v[148:149], v[22:23]
	v_fma_f64 v[64:65], v[152:153], v[44:45], -v[28:29]
	ds_read_b128 v[28:31], v118 offset:2720
	v_fmac_f64_e32 v[66:67], v[146:147], v[20:21]
	v_mul_f64 v[20:21], v[148:149], v[20:21]
	v_fma_f64 v[68:69], v[146:147], v[22:23], -v[20:21]
	ds_read_b128 v[20:23], v118 offset:2992
	s_waitcnt lgkmcnt(1)
	v_mul_f64 v[70:71], v[162:163], v[30:31]
	v_mul_f64 v[74:75], v[158:159], v[26:27]
	v_fmac_f64_e32 v[70:71], v[160:161], v[28:29]
	v_mul_f64 v[28:29], v[162:163], v[28:29]
	v_fmac_f64_e32 v[74:75], v[156:157], v[24:25]
	v_mul_f64 v[24:25], v[158:159], v[24:25]
	s_waitcnt lgkmcnt(0)
	v_mul_f64 v[78:79], v[192:193], v[22:23]
	v_fma_f64 v[72:73], v[160:161], v[30:31], -v[28:29]
	v_fma_f64 v[76:77], v[156:157], v[26:27], -v[24:25]
	ds_read_b128 v[24:27], v118 offset:4896
	ds_read_b128 v[28:31], v118 offset:5168
	v_fmac_f64_e32 v[78:79], v[190:191], v[20:21]
	v_mul_f64 v[20:21], v[192:193], v[20:21]
	v_fma_f64 v[80:81], v[190:191], v[22:23], -v[20:21]
	ds_read_b128 v[20:23], v118 offset:3264
	v_mul_f64 v[54:55], v[126:127], v[34:35]
	v_fmac_f64_e32 v[54:55], v[124:125], v[32:33]
	s_waitcnt lgkmcnt(2)
	v_mul_f64 v[82:83], v[166:167], v[26:27]
	ds_read_b128 v[32:35], v118 offset:5440
	v_fmac_f64_e32 v[82:83], v[164:165], v[24:25]
	v_mul_f64 v[24:25], v[166:167], v[24:25]
	v_fma_f64 v[84:85], v[164:165], v[26:27], -v[24:25]
	ds_read_b128 v[24:27], v118 offset:3536
	s_waitcnt lgkmcnt(2)
	v_mul_f64 v[86:87], v[200:201], v[22:23]
	v_accvgpr_read_b32 v128, a4
	v_fmac_f64_e32 v[86:87], v[198:199], v[20:21]
	v_mul_f64 v[20:21], v[200:201], v[20:21]
	v_mad_u64_u32 v[38:39], s[0:1], s6, v128, 0
	v_fma_f64 v[88:89], v[198:199], v[22:23], -v[20:21]
	v_mul_f64 v[90:91], v[196:197], v[30:31]
	v_mul_f64 v[20:21], v[196:197], v[28:29]
	v_fmac_f64_e32 v[90:91], v[194:195], v[28:29]
	v_fma_f64 v[92:93], v[194:195], v[30:31], -v[20:21]
	s_waitcnt lgkmcnt(1)
	v_mul_f64 v[28:29], v[204:205], v[32:33]
	v_add_f64 v[30:31], v[46:47], v[50:51]
	s_mov_b32 s0, 0xe8584caa
	v_mul_f64 v[62:63], v[154:155], v[44:45]
	v_mul_f64 v[98:99], v[204:205], v[34:35]
	v_fma_f64 v[100:101], v[202:203], v[34:35], -v[28:29]
	v_add_f64 v[28:29], v[0:1], v[46:47]
	v_fmac_f64_e32 v[0:1], -0.5, v[30:31]
	v_add_f64 v[30:31], v[48:49], -v[52:53]
	s_mov_b32 s1, 0xbfebb67a
	s_mov_b32 s9, 0x3febb67a
	;; [unrolled: 1-line block ×3, first 2 shown]
	v_add_f64 v[34:35], v[48:49], v[52:53]
	v_fmac_f64_e32 v[62:63], v[152:153], v[42:43]
	v_fmac_f64_e32 v[98:99], v[202:203], v[32:33]
	v_fma_f64 v[32:33], s[0:1], v[30:31], v[0:1]
	v_fmac_f64_e32 v[0:1], s[8:9], v[30:31]
	v_add_f64 v[30:31], v[2:3], v[48:49]
	v_fmac_f64_e32 v[2:3], -0.5, v[34:35]
	v_add_f64 v[42:43], v[46:47], -v[50:51]
	v_add_f64 v[44:45], v[54:55], v[58:59]
	v_fma_f64 v[34:35], s[8:9], v[42:43], v[2:3]
	v_fmac_f64_e32 v[2:3], s[0:1], v[42:43]
	v_add_f64 v[42:43], v[4:5], v[54:55]
	v_fmac_f64_e32 v[4:5], -0.5, v[44:45]
	v_add_f64 v[44:45], v[56:57], -v[60:61]
	v_add_f64 v[48:49], v[56:57], v[60:61]
	s_waitcnt lgkmcnt(0)
	v_mul_f64 v[94:95], v[208:209], v[26:27]
	v_mul_f64 v[20:21], v[208:209], v[24:25]
	v_add_f64 v[28:29], v[28:29], v[50:51]
	v_add_f64 v[30:31], v[30:31], v[52:53]
	v_fma_f64 v[46:47], s[0:1], v[44:45], v[4:5]
	v_fmac_f64_e32 v[4:5], s[8:9], v[44:45]
	v_add_f64 v[44:45], v[6:7], v[56:57]
	v_fmac_f64_e32 v[6:7], -0.5, v[48:49]
	v_add_f64 v[50:51], v[54:55], -v[58:59]
	v_add_f64 v[52:53], v[62:63], v[66:67]
	v_fmac_f64_e32 v[94:95], v[206:207], v[24:25]
	v_fma_f64 v[96:97], v[206:207], v[26:27], -v[20:21]
	ds_read_b128 v[24:27], v118 offset:1088
	ds_read_b128 v[20:23], v118 offset:1360
	v_fma_f64 v[48:49], s[8:9], v[50:51], v[6:7]
	v_fmac_f64_e32 v[6:7], s[0:1], v[50:51]
	v_add_f64 v[50:51], v[8:9], v[62:63]
	v_fmac_f64_e32 v[8:9], -0.5, v[52:53]
	v_add_f64 v[52:53], v[64:65], -v[68:69]
	v_add_f64 v[56:57], v[64:65], v[68:69]
	v_add_f64 v[42:43], v[42:43], v[58:59]
	;; [unrolled: 1-line block ×3, first 2 shown]
	v_fma_f64 v[54:55], s[0:1], v[52:53], v[8:9]
	v_fmac_f64_e32 v[8:9], s[8:9], v[52:53]
	v_add_f64 v[52:53], v[10:11], v[64:65]
	v_fmac_f64_e32 v[10:11], -0.5, v[56:57]
	v_add_f64 v[58:59], v[62:63], -v[66:67]
	v_add_f64 v[60:61], v[70:71], v[74:75]
	v_fma_f64 v[56:57], s[8:9], v[58:59], v[10:11]
	v_fmac_f64_e32 v[10:11], s[0:1], v[58:59]
	v_add_f64 v[58:59], v[12:13], v[70:71]
	v_fmac_f64_e32 v[12:13], -0.5, v[60:61]
	v_add_f64 v[60:61], v[72:73], -v[76:77]
	v_add_f64 v[64:65], v[72:73], v[76:77]
	v_add_f64 v[50:51], v[50:51], v[66:67]
	v_add_f64 v[52:53], v[52:53], v[68:69]
	v_fma_f64 v[62:63], s[0:1], v[60:61], v[12:13]
	v_fmac_f64_e32 v[12:13], s[8:9], v[60:61]
	v_add_f64 v[60:61], v[14:15], v[72:73]
	v_fmac_f64_e32 v[14:15], -0.5, v[64:65]
	v_add_f64 v[66:67], v[70:71], -v[74:75]
	v_add_f64 v[68:69], v[78:79], v[82:83]
	v_fma_f64 v[64:65], s[8:9], v[66:67], v[14:15]
	v_fmac_f64_e32 v[14:15], s[0:1], v[66:67]
	s_waitcnt lgkmcnt(1)
	v_add_f64 v[66:67], v[24:25], v[78:79]
	v_fmac_f64_e32 v[24:25], -0.5, v[68:69]
	v_add_f64 v[68:69], v[80:81], -v[84:85]
	v_add_f64 v[72:73], v[80:81], v[84:85]
	v_add_f64 v[58:59], v[58:59], v[74:75]
	v_fma_f64 v[70:71], s[0:1], v[68:69], v[24:25]
	v_fmac_f64_e32 v[24:25], s[8:9], v[68:69]
	v_add_f64 v[68:69], v[26:27], v[80:81]
	v_fmac_f64_e32 v[26:27], -0.5, v[72:73]
	v_add_f64 v[74:75], v[78:79], -v[82:83]
	v_fma_f64 v[72:73], s[8:9], v[74:75], v[26:27]
	v_fmac_f64_e32 v[26:27], s[0:1], v[74:75]
	s_waitcnt lgkmcnt(0)
	v_add_f64 v[74:75], v[20:21], v[86:87]
	v_add_f64 v[60:61], v[60:61], v[76:77]
	;; [unrolled: 1-line block ×4, first 2 shown]
	v_fmac_f64_e32 v[20:21], -0.5, v[74:75]
	v_add_f64 v[74:75], v[88:89], -v[92:93]
	v_fma_f64 v[80:81], s[0:1], v[74:75], v[20:21]
	v_fmac_f64_e32 v[20:21], s[8:9], v[74:75]
	v_add_f64 v[74:75], v[22:23], v[88:89]
	v_add_f64 v[78:79], v[74:75], v[92:93]
	;; [unrolled: 1-line block ×3, first 2 shown]
	v_fmac_f64_e32 v[22:23], -0.5, v[74:75]
	v_add_f64 v[74:75], v[86:87], -v[90:91]
	v_add_f64 v[66:67], v[66:67], v[82:83]
	v_fma_f64 v[82:83], s[8:9], v[74:75], v[22:23]
	v_fmac_f64_e32 v[22:23], s[0:1], v[74:75]
	v_add_f64 v[74:75], v[16:17], v[94:95]
	v_add_f64 v[68:69], v[68:69], v[84:85]
	;; [unrolled: 1-line block ×4, first 2 shown]
	v_fmac_f64_e32 v[16:17], -0.5, v[74:75]
	v_add_f64 v[74:75], v[96:97], -v[100:101]
	v_fma_f64 v[88:89], s[0:1], v[74:75], v[16:17]
	v_fmac_f64_e32 v[16:17], s[8:9], v[74:75]
	v_add_f64 v[74:75], v[18:19], v[96:97]
	v_add_f64 v[86:87], v[74:75], v[100:101]
	;; [unrolled: 1-line block ×3, first 2 shown]
	v_fmac_f64_e32 v[18:19], -0.5, v[74:75]
	v_add_f64 v[74:75], v[94:95], -v[98:99]
	v_fma_f64 v[90:91], s[8:9], v[74:75], v[18:19]
	v_fmac_f64_e32 v[18:19], s[0:1], v[74:75]
	s_barrier
	ds_write_b128 v118, v[28:31]
	ds_write_b128 v118, v[32:35] offset:272
	ds_write_b128 v118, v[0:3] offset:544
	;; [unrolled: 1-line block ×20, first 2 shown]
	s_waitcnt lgkmcnt(0)
	s_barrier
	ds_read_b128 v[8:11], v118
	ds_read_b128 v[4:7], v118 offset:272
	ds_read_b128 v[12:15], v118 offset:1632
	;; [unrolled: 1-line block ×20, first 2 shown]
	s_waitcnt lgkmcnt(12)
	v_mul_f64 v[74:75], v[186:187], v[44:45]
	v_fmac_f64_e32 v[74:75], v[184:185], v[42:43]
	v_mul_f64 v[42:43], v[186:187], v[42:43]
	v_mul_f64 v[98:99], v[174:175], v[22:23]
	v_fma_f64 v[92:93], v[184:185], v[44:45], -v[42:43]
	s_waitcnt lgkmcnt(8)
	v_mul_f64 v[42:43], v[178:179], v[54:55]
	v_fmac_f64_e32 v[98:99], v[172:173], v[20:21]
	v_mul_f64 v[20:21], v[174:175], v[20:21]
	v_fma_f64 v[96:97], v[176:177], v[56:57], -v[42:43]
	v_fma_f64 v[20:21], v[172:173], v[22:23], -v[20:21]
	s_waitcnt lgkmcnt(4)
	v_mul_f64 v[22:23], v[216:217], v[72:73]
	v_mul_f64 v[42:43], v[216:217], v[70:71]
	v_fmac_f64_e32 v[22:23], v[214:215], v[70:71]
	v_fma_f64 v[70:71], v[214:215], v[72:73], -v[42:43]
	v_mul_f64 v[72:73], v[212:213], v[30:31]
	v_accvgpr_read_b32 v42, a154
	v_fmac_f64_e32 v[72:73], v[210:211], v[28:29]
	v_mul_f64 v[28:29], v[212:213], v[28:29]
	v_accvgpr_read_b32 v44, a156
	v_accvgpr_read_b32 v45, a157
	v_fma_f64 v[28:29], v[210:211], v[30:31], -v[28:29]
	v_accvgpr_read_b32 v43, a155
	v_mul_f64 v[100:101], v[44:45], v[48:49]
	v_mul_f64 v[30:31], v[44:45], v[46:47]
	v_fmac_f64_e32 v[100:101], v[42:43], v[46:47]
	v_fma_f64 v[102:103], v[42:43], v[48:49], -v[30:31]
	v_accvgpr_read_b32 v42, a150
	v_accvgpr_read_b32 v44, a152
	;; [unrolled: 1-line block ×4, first 2 shown]
	v_mul_f64 v[104:105], v[44:45], v[18:19]
	v_fmac_f64_e32 v[104:105], v[42:43], v[16:17]
	v_mul_f64 v[16:17], v[44:45], v[16:17]
	v_fma_f64 v[106:107], v[42:43], v[18:19], -v[16:17]
	v_accvgpr_read_b32 v42, a146
	v_accvgpr_read_b32 v44, a148
	;; [unrolled: 1-line block ×4, first 2 shown]
	v_mul_f64 v[108:109], v[44:45], v[64:65]
	v_mul_f64 v[16:17], v[44:45], v[62:63]
	v_fmac_f64_e32 v[108:109], v[42:43], v[62:63]
	v_fma_f64 v[110:111], v[42:43], v[64:65], -v[16:17]
	v_accvgpr_read_b32 v42, a142
	v_accvgpr_read_b32 v44, a144
	;; [unrolled: 1-line block ×4, first 2 shown]
	v_mul_f64 v[112:113], v[44:45], v[26:27]
	v_mul_f64 v[16:17], v[44:45], v[24:25]
	v_fmac_f64_e32 v[112:113], v[42:43], v[24:25]
	v_fma_f64 v[114:115], v[42:43], v[26:27], -v[16:17]
	v_accvgpr_read_b32 v24, a162
	v_accvgpr_read_b32 v26, a164
	;; [unrolled: 1-line block ×4, first 2 shown]
	s_waitcnt lgkmcnt(2)
	v_mul_f64 v[116:117], v[26:27], v[82:83]
	v_mul_f64 v[16:17], v[26:27], v[80:81]
	v_fmac_f64_e32 v[116:117], v[24:25], v[80:81]
	v_fma_f64 v[80:81], v[24:25], v[82:83], -v[16:17]
	v_accvgpr_read_b32 v24, a158
	v_accvgpr_read_b32 v26, a160
	;; [unrolled: 1-line block ×4, first 2 shown]
	v_mul_f64 v[16:17], v[26:27], v[32:33]
	v_mul_f64 v[82:83], v[26:27], v[34:35]
	v_fma_f64 v[120:121], v[24:25], v[34:35], -v[16:17]
	v_mul_f64 v[16:17], v[230:231], v[50:51]
	v_fmac_f64_e32 v[82:83], v[24:25], v[32:33]
	v_mul_f64 v[42:43], v[230:231], v[52:53]
	v_fma_f64 v[48:49], v[228:229], v[52:53], -v[16:17]
	v_mul_f64 v[16:17], v[226:227], v[58:59]
	v_accvgpr_read_b32 v24, a166
	v_mul_f64 v[94:95], v[182:183], v[14:15]
	v_fmac_f64_e32 v[42:43], v[228:229], v[50:51]
	v_fma_f64 v[50:51], v[224:225], v[60:61], -v[16:17]
	v_mul_f64 v[16:17], v[222:223], v[66:67]
	v_accvgpr_read_b32 v26, a168
	v_accvgpr_read_b32 v27, a169
	v_fmac_f64_e32 v[94:95], v[180:181], v[12:13]
	v_mul_f64 v[12:13], v[182:183], v[12:13]
	v_fma_f64 v[52:53], v[220:221], v[68:69], -v[16:17]
	v_accvgpr_read_b32 v25, a167
	v_mul_f64 v[16:17], v[26:27], v[76:77]
	v_fma_f64 v[12:13], v[180:181], v[14:15], -v[12:13]
	v_mul_f64 v[14:15], v[178:179], v[56:57]
	v_fma_f64 v[56:57], v[24:25], v[78:79], -v[16:17]
	s_waitcnt lgkmcnt(1)
	v_mul_f64 v[16:17], v[238:239], v[84:85]
	v_mul_f64 v[44:45], v[226:227], v[60:61]
	v_fma_f64 v[60:61], v[236:237], v[86:87], -v[16:17]
	s_waitcnt lgkmcnt(0)
	v_mul_f64 v[16:17], v[234:235], v[88:89]
	v_fmac_f64_e32 v[14:15], v[176:177], v[54:55]
	v_mul_f64 v[46:47], v[222:223], v[68:69]
	v_mul_f64 v[54:55], v[26:27], v[78:79]
	v_fma_f64 v[64:65], v[232:233], v[90:91], -v[16:17]
	v_add_f64 v[16:17], v[74:75], v[72:73]
	v_add_f64 v[18:19], v[92:93], v[28:29]
	v_add_f64 v[26:27], v[92:93], -v[28:29]
	v_add_f64 v[28:29], v[94:95], v[22:23]
	v_fmac_f64_e32 v[46:47], v[220:221], v[66:67]
	v_add_f64 v[30:31], v[12:13], v[70:71]
	v_add_f64 v[32:33], v[14:15], v[98:99]
	;; [unrolled: 1-line block ×3, first 2 shown]
	v_add_f64 v[12:13], v[12:13], -v[70:71]
	v_add_f64 v[34:35], v[96:97], v[20:21]
	v_add_f64 v[68:69], v[30:31], v[18:19]
	v_add_f64 v[70:71], v[28:29], -v[16:17]
	v_add_f64 v[16:17], v[16:17], -v[32:33]
	;; [unrolled: 1-line block ×3, first 2 shown]
	v_add_f64 v[32:33], v[32:33], v[66:67]
	v_fmac_f64_e32 v[44:45], v[224:225], v[58:59]
	v_fmac_f64_e32 v[54:55], v[24:25], v[76:77]
	v_mul_f64 v[58:59], v[238:239], v[86:87]
	v_add_f64 v[24:25], v[74:75], -v[72:73]
	v_add_f64 v[22:23], v[94:95], -v[22:23]
	;; [unrolled: 1-line block ×7, first 2 shown]
	v_add_f64 v[34:35], v[34:35], v[68:69]
	v_add_f64 v[8:9], v[8:9], v[32:33]
	s_mov_b32 s8, 0x37e14327
	s_mov_b32 s0, 0x36b3c0b5
	;; [unrolled: 1-line block ×4, first 2 shown]
	v_mov_b32_e32 v36, s10
	v_mov_b32_e32 v37, s11
	v_fmac_f64_e32 v[58:59], v[236:237], v[84:85]
	v_add_f64 v[74:75], v[14:15], v[22:23]
	v_add_f64 v[76:77], v[20:21], v[12:13]
	v_add_f64 v[78:79], v[14:15], -v[22:23]
	v_add_f64 v[84:85], v[20:21], -v[12:13]
	v_add_f64 v[10:11], v[10:11], v[34:35]
	s_mov_b32 s9, 0x3fe948f6
	s_mov_b32 s1, 0x3fac98ee
	s_mov_b32 s13, 0x3fe11646
	s_mov_b32 s10, 0x429ad128
	s_mov_b32 s15, 0xbff2aaaa
	v_mov_b64_e32 v[86:87], v[8:9]
	s_mov_b32 s16, 0x5476071b
	s_mov_b32 s20, 0xb247c609
	v_add_f64 v[14:15], v[24:25], -v[14:15]
	v_add_f64 v[20:21], v[26:27], -v[20:21]
	;; [unrolled: 1-line block ×4, first 2 shown]
	v_add_f64 v[24:25], v[74:75], v[24:25]
	v_add_f64 v[26:27], v[76:77], v[26:27]
	v_mul_f64 v[16:17], v[16:17], s[8:9]
	v_mul_f64 v[18:19], v[18:19], s[8:9]
	;; [unrolled: 1-line block ×6, first 2 shown]
	s_mov_b32 s11, 0xbfebfeb5
	v_fmac_f64_e32 v[86:87], s[14:15], v[32:33]
	v_mov_b64_e32 v[32:33], v[10:11]
	s_mov_b32 s17, 0x3fe77f67
	s_mov_b32 s19, 0xbfe77f67
	;; [unrolled: 1-line block ×5, first 2 shown]
	v_mul_f64 v[62:63], v[234:235], v[90:91]
	v_mul_f64 v[78:79], v[22:23], s[10:11]
	;; [unrolled: 1-line block ×3, first 2 shown]
	v_fmac_f64_e32 v[32:33], s[14:15], v[34:35]
	v_fma_f64 v[34:35], v[70:71], s[16:17], -v[66:67]
	v_fma_f64 v[66:67], v[72:73], s[16:17], -v[68:69]
	;; [unrolled: 1-line block ×3, first 2 shown]
	v_fmac_f64_e32 v[16:17], s[0:1], v[28:29]
	v_fma_f64 v[28:29], v[72:73], s[18:19], -v[18:19]
	v_fmac_f64_e32 v[18:19], s[0:1], v[30:31]
	v_fma_f64 v[30:31], v[22:23], s[10:11], -v[74:75]
	v_fmac_f64_e32 v[74:75], s[20:21], v[14:15]
	v_fma_f64 v[70:71], v[12:13], s[10:11], -v[76:77]
	s_mov_b32 s25, 0x3fd5d0dc
	s_mov_b32 s24, s20
	;; [unrolled: 1-line block ×3, first 2 shown]
	v_fmac_f64_e32 v[62:63], v[232:233], v[88:89]
	v_fmac_f64_e32 v[76:77], s[20:21], v[20:21]
	v_fma_f64 v[72:73], v[14:15], s[24:25], -v[78:79]
	v_fma_f64 v[78:79], v[20:21], s[24:25], -v[84:85]
	v_add_f64 v[88:89], v[18:19], v[32:33]
	v_add_f64 v[34:35], v[34:35], v[86:87]
	;; [unrolled: 1-line block ×3, first 2 shown]
	v_fmac_f64_e32 v[74:75], s[22:23], v[24:25]
	v_fmac_f64_e32 v[30:31], s[22:23], v[24:25]
	;; [unrolled: 1-line block ×3, first 2 shown]
	v_add_f64 v[84:85], v[16:17], v[86:87]
	v_add_f64 v[68:69], v[68:69], v[86:87]
	;; [unrolled: 1-line block ×3, first 2 shown]
	v_fmac_f64_e32 v[76:77], s[22:23], v[26:27]
	v_fmac_f64_e32 v[72:73], s[22:23], v[24:25]
	;; [unrolled: 1-line block ×3, first 2 shown]
	v_add_f64 v[14:15], v[88:89], -v[74:75]
	v_add_f64 v[20:21], v[34:35], -v[70:71]
	v_add_f64 v[22:23], v[30:31], v[66:67]
	v_add_f64 v[24:25], v[70:71], v[34:35]
	v_add_f64 v[26:27], v[66:67], -v[30:31]
	v_add_f64 v[34:35], v[74:75], v[88:89]
	v_add_f64 v[66:67], v[100:101], v[82:83]
	;; [unrolled: 1-line block ×5, first 2 shown]
	v_add_f64 v[18:19], v[32:33], -v[72:73]
	v_add_f64 v[28:29], v[68:69], -v[78:79]
	v_add_f64 v[30:31], v[72:73], v[32:33]
	v_add_f64 v[32:33], v[84:85], -v[76:77]
	v_add_f64 v[68:69], v[102:103], v[120:121]
	;; [unrolled: 2-line block ×3, first 2 shown]
	v_add_f64 v[82:83], v[108:109], v[112:113]
	v_add_f64 v[90:91], v[74:75], v[66:67]
	;; [unrolled: 1-line block ×4, first 2 shown]
	v_add_f64 v[94:95], v[74:75], -v[66:67]
	v_add_f64 v[66:67], v[66:67], -v[82:83]
	;; [unrolled: 1-line block ×3, first 2 shown]
	v_add_f64 v[82:83], v[82:83], v[90:91]
	v_add_f64 v[78:79], v[104:105], -v[116:117]
	v_add_f64 v[86:87], v[112:113], -v[108:109]
	v_add_f64 v[96:97], v[76:77], -v[68:69]
	v_add_f64 v[68:69], v[68:69], -v[84:85]
	v_add_f64 v[76:77], v[84:85], -v[76:77]
	v_add_f64 v[84:85], v[84:85], v[92:93]
	v_add_f64 v[4:5], v[4:5], v[82:83]
	v_add_f64 v[72:73], v[102:103], -v[120:121]
	v_add_f64 v[80:81], v[106:107], -v[80:81]
	;; [unrolled: 1-line block ×3, first 2 shown]
	v_add_f64 v[98:99], v[86:87], v[78:79]
	v_add_f64 v[102:103], v[86:87], -v[78:79]
	v_add_f64 v[78:79], v[78:79], -v[70:71]
	v_add_f64 v[6:7], v[6:7], v[84:85]
	v_mov_b64_e32 v[106:107], v[4:5]
	v_add_f64 v[100:101], v[88:89], v[80:81]
	v_add_f64 v[104:105], v[88:89], -v[80:81]
	v_add_f64 v[86:87], v[70:71], -v[86:87]
	;; [unrolled: 1-line block ×3, first 2 shown]
	v_add_f64 v[70:71], v[98:99], v[70:71]
	v_mul_f64 v[66:67], v[66:67], s[8:9]
	v_mul_f64 v[68:69], v[68:69], s[8:9]
	;; [unrolled: 1-line block ×6, first 2 shown]
	v_fmac_f64_e32 v[106:107], s[14:15], v[82:83]
	v_mov_b64_e32 v[82:83], v[6:7]
	v_add_f64 v[88:89], v[72:73], -v[88:89]
	v_add_f64 v[72:73], v[100:101], v[72:73]
	v_mul_f64 v[100:101], v[104:105], s[12:13]
	v_mul_f64 v[104:105], v[80:81], s[10:11]
	v_fmac_f64_e32 v[82:83], s[14:15], v[84:85]
	v_fma_f64 v[84:85], v[94:95], s[16:17], -v[90:91]
	v_fma_f64 v[90:91], v[96:97], s[16:17], -v[92:93]
	;; [unrolled: 1-line block ×3, first 2 shown]
	v_fmac_f64_e32 v[66:67], s[0:1], v[74:75]
	v_fma_f64 v[74:75], v[96:97], s[18:19], -v[68:69]
	v_fma_f64 v[94:95], v[78:79], s[10:11], -v[98:99]
	v_fmac_f64_e32 v[98:99], s[20:21], v[86:87]
	v_fma_f64 v[86:87], v[86:87], s[24:25], -v[102:103]
	v_fma_f64 v[80:81], v[80:81], s[10:11], -v[100:101]
	v_fmac_f64_e32 v[100:101], s[20:21], v[88:89]
	v_fma_f64 v[88:89], v[88:89], s[24:25], -v[104:105]
	v_add_f64 v[74:75], v[74:75], v[82:83]
	v_fmac_f64_e32 v[86:87], s[22:23], v[70:71]
	v_add_f64 v[84:85], v[84:85], v[106:107]
	v_add_f64 v[92:93], v[92:93], v[106:107]
	v_fmac_f64_e32 v[100:101], s[22:23], v[72:73]
	v_fmac_f64_e32 v[80:81], s[22:23], v[72:73]
	;; [unrolled: 1-line block ×3, first 2 shown]
	v_add_f64 v[72:73], v[74:75], -v[86:87]
	v_add_f64 v[86:87], v[86:87], v[74:75]
	v_add_f64 v[74:75], v[42:43], v[62:63]
	v_add_f64 v[42:43], v[42:43], -v[62:63]
	v_add_f64 v[62:63], v[44:45], v[58:59]
	v_fmac_f64_e32 v[68:69], s[0:1], v[76:77]
	v_fmac_f64_e32 v[98:99], s[22:23], v[70:71]
	;; [unrolled: 1-line block ×3, first 2 shown]
	v_add_f64 v[70:71], v[88:89], v[92:93]
	v_add_f64 v[76:77], v[84:85], -v[80:81]
	v_add_f64 v[80:81], v[80:81], v[84:85]
	v_add_f64 v[84:85], v[92:93], -v[88:89]
	;; [unrolled: 2-line block ×7, first 2 shown]
	v_add_f64 v[56:57], v[64:65], v[92:93]
	v_add_f64 v[54:55], v[58:59], v[54:55]
	;; [unrolled: 1-line block ×8, first 2 shown]
	v_add_f64 v[68:69], v[102:103], -v[98:99]
	v_add_f64 v[78:79], v[94:95], v[90:91]
	v_add_f64 v[82:83], v[90:91], -v[94:95]
	v_add_f64 v[88:89], v[96:97], -v[100:101]
	v_add_f64 v[90:91], v[98:99], v[102:103]
	v_add_f64 v[94:95], v[62:63], -v[74:75]
	v_add_f64 v[96:97], v[64:65], -v[92:93]
	;; [unrolled: 1-line block ×6, first 2 shown]
	v_add_f64 v[98:99], v[46:47], v[44:45]
	v_add_f64 v[100:101], v[52:53], v[50:51]
	v_add_f64 v[102:103], v[46:47], -v[44:45]
	v_add_f64 v[104:105], v[52:53], -v[50:51]
	;; [unrolled: 1-line block ×4, first 2 shown]
	v_add_f64 v[2:3], v[2:3], v[56:57]
	v_mov_b64_e32 v[106:107], v[0:1]
	v_add_f64 v[46:47], v[42:43], -v[46:47]
	v_add_f64 v[52:53], v[48:49], -v[52:53]
	v_add_f64 v[42:43], v[98:99], v[42:43]
	v_add_f64 v[48:49], v[100:101], v[48:49]
	v_mul_f64 v[58:59], v[74:75], s[8:9]
	v_mul_f64 v[60:61], v[92:93], s[8:9]
	;; [unrolled: 1-line block ×8, first 2 shown]
	v_fmac_f64_e32 v[106:107], s[14:15], v[54:55]
	v_mov_b64_e32 v[54:55], v[2:3]
	v_fmac_f64_e32 v[54:55], s[14:15], v[56:57]
	v_fma_f64 v[56:57], s[0:1], v[62:63], v[58:59]
	v_fma_f64 v[62:63], v[94:95], s[16:17], -v[74:75]
	v_fma_f64 v[74:75], v[96:97], s[16:17], -v[92:93]
	;; [unrolled: 1-line block ×4, first 2 shown]
	v_fmac_f64_e32 v[60:61], s[0:1], v[64:65]
	v_fma_f64 v[64:65], s[20:21], v[46:47], v[98:99]
	v_fma_f64 v[94:95], v[44:45], s[10:11], -v[98:99]
	v_fma_f64 v[96:97], v[50:51], s[10:11], -v[100:101]
	v_fmac_f64_e32 v[100:101], s[20:21], v[52:53]
	v_fma_f64 v[98:99], v[46:47], s[24:25], -v[102:103]
	v_fma_f64 v[102:103], v[52:53], s[24:25], -v[104:105]
	v_add_f64 v[104:105], v[56:57], v[106:107]
	v_add_f64 v[108:109], v[60:61], v[54:55]
	;; [unrolled: 1-line block ×6, first 2 shown]
	v_fmac_f64_e32 v[64:65], s[22:23], v[42:43]
	v_fmac_f64_e32 v[100:101], s[22:23], v[48:49]
	;; [unrolled: 1-line block ×6, first 2 shown]
	v_add_f64 v[42:43], v[100:101], v[104:105]
	v_add_f64 v[44:45], v[108:109], -v[64:65]
	v_add_f64 v[46:47], v[102:103], v[58:59]
	v_add_f64 v[48:49], v[62:63], -v[98:99]
	v_add_f64 v[50:51], v[56:57], -v[96:97]
	v_add_f64 v[52:53], v[94:95], v[60:61]
	v_add_f64 v[54:55], v[96:97], v[56:57]
	v_add_f64 v[56:57], v[60:61], -v[94:95]
	v_add_f64 v[58:59], v[58:59], -v[102:103]
	v_add_f64 v[60:61], v[98:99], v[62:63]
	v_add_f64 v[62:63], v[104:105], -v[100:101]
	v_add_f64 v[64:65], v[64:65], v[108:109]
	ds_write_b128 v118, v[8:11]
	ds_write_b128 v118, v[12:15] offset:816
	ds_write_b128 v118, v[16:19] offset:1632
	;; [unrolled: 1-line block ×20, first 2 shown]
	s_waitcnt lgkmcnt(0)
	s_barrier
	ds_read_b128 v[0:3], v118
	v_mov_b32_e32 v40, v39
	v_accvgpr_read_b32 v13, a9
	v_mad_u64_u32 v[4:5], s[0:1], s7, v128, v[40:41]
	v_accvgpr_read_b32 v12, a8
	v_mov_b32_e32 v39, v4
	ds_read_b128 v[4:7], v118 offset:336
	v_accvgpr_read_b32 v11, a7
	v_accvgpr_read_b32 v10, a6
	s_waitcnt lgkmcnt(1)
	v_mul_f64 v[8:9], v[12:13], v[2:3]
	v_fmac_f64_e32 v[8:9], v[10:11], v[0:1]
	s_mov_b32 s0, 0x16f26017
	v_mul_f64 v[0:1], v[12:13], v[0:1]
	s_mov_b32 s1, 0x3f66f260
	v_fma_f64 v[0:1], v[10:11], v[2:3], -v[0:1]
	v_mad_u64_u32 v[2:3], s[6:7], s4, v150, 0
	v_mul_f64 v[10:11], v[0:1], s[0:1]
	v_mov_b32_e32 v0, v3
	v_mad_u64_u32 v[0:1], s[6:7], s5, v150, v[0:1]
	v_mov_b32_e32 v3, v0
	v_lshl_add_u64 v[0:1], v[38:39], 4, v[36:37]
	v_mul_f64 v[8:9], v[8:9], s[0:1]
	v_lshl_add_u64 v[12:13], v[2:3], 4, v[0:1]
	global_store_dwordx4 v[12:13], v[8:11], off
	s_mul_i32 s6, s5, 21
	s_mul_hi_u32 s7, s4, 21
	v_accvgpr_read_b32 v8, a38
	v_accvgpr_read_b32 v10, a40
	;; [unrolled: 1-line block ×4, first 2 shown]
	s_waitcnt lgkmcnt(0)
	v_mul_f64 v[2:3], v[10:11], v[6:7]
	v_fmac_f64_e32 v[2:3], v[8:9], v[4:5]
	v_mul_f64 v[4:5], v[10:11], v[4:5]
	v_fma_f64 v[4:5], v[8:9], v[6:7], -v[4:5]
	ds_read_b128 v[6:9], v118 offset:672
	s_add_i32 s7, s7, s6
	s_mul_i32 s6, s4, 21
	s_lshl_b64 s[6:7], s[6:7], 4
	v_accvgpr_read_b32 v19, a13
	v_mul_f64 v[2:3], v[2:3], s[0:1]
	v_mul_f64 v[4:5], v[4:5], s[0:1]
	v_lshl_add_u64 v[14:15], v[12:13], 0, s[6:7]
	v_accvgpr_read_b32 v18, a12
	global_store_dwordx4 v[14:15], v[2:5], off
	ds_read_b128 v[2:5], v118 offset:1008
	v_accvgpr_read_b32 v17, a11
	v_accvgpr_read_b32 v16, a10
	s_waitcnt lgkmcnt(1)
	v_mul_f64 v[10:11], v[18:19], v[8:9]
	v_fmac_f64_e32 v[10:11], v[16:17], v[6:7]
	v_mul_f64 v[6:7], v[18:19], v[6:7]
	v_fma_f64 v[6:7], v[16:17], v[8:9], -v[6:7]
	v_mul_f64 v[10:11], v[10:11], s[0:1]
	v_mul_f64 v[12:13], v[6:7], s[0:1]
	v_lshl_add_u64 v[14:15], v[14:15], 0, s[6:7]
	global_store_dwordx4 v[14:15], v[10:13], off
	v_accvgpr_read_b32 v8, a34
	v_accvgpr_read_b32 v9, a35
	;; [unrolled: 1-line block ×4, first 2 shown]
	s_waitcnt lgkmcnt(0)
	v_mul_f64 v[6:7], v[10:11], v[4:5]
	v_fmac_f64_e32 v[6:7], v[8:9], v[2:3]
	v_mul_f64 v[2:3], v[10:11], v[2:3]
	v_fma_f64 v[8:9], v[8:9], v[4:5], -v[2:3]
	ds_read_b128 v[2:5], v118 offset:1344
	v_accvgpr_read_b32 v19, a17
	v_mul_f64 v[6:7], v[6:7], s[0:1]
	v_mul_f64 v[8:9], v[8:9], s[0:1]
	v_lshl_add_u64 v[14:15], v[14:15], 0, s[6:7]
	v_accvgpr_read_b32 v18, a16
	global_store_dwordx4 v[14:15], v[6:9], off
	ds_read_b128 v[6:9], v118 offset:1680
	v_accvgpr_read_b32 v17, a15
	v_accvgpr_read_b32 v16, a14
	s_waitcnt lgkmcnt(1)
	v_mul_f64 v[10:11], v[18:19], v[4:5]
	v_fmac_f64_e32 v[10:11], v[16:17], v[2:3]
	v_mul_f64 v[2:3], v[18:19], v[2:3]
	v_fma_f64 v[2:3], v[16:17], v[4:5], -v[2:3]
	v_mul_f64 v[10:11], v[10:11], s[0:1]
	v_mul_f64 v[12:13], v[2:3], s[0:1]
	v_lshl_add_u64 v[14:15], v[14:15], 0, s[6:7]
	global_store_dwordx4 v[14:15], v[10:13], off
	v_accvgpr_read_b32 v16, a18
	v_lshl_add_u64 v[14:15], v[14:15], 0, s[6:7]
	v_accvgpr_read_b32 v10, a26
	v_accvgpr_read_b32 v12, a28
	;; [unrolled: 1-line block ×4, first 2 shown]
	s_waitcnt lgkmcnt(0)
	v_mul_f64 v[2:3], v[12:13], v[8:9]
	v_mul_f64 v[4:5], v[12:13], v[6:7]
	v_fmac_f64_e32 v[2:3], v[10:11], v[6:7]
	v_fma_f64 v[4:5], v[10:11], v[8:9], -v[4:5]
	ds_read_b128 v[6:9], v118 offset:2016
	v_mul_f64 v[2:3], v[2:3], s[0:1]
	v_mul_f64 v[4:5], v[4:5], s[0:1]
	v_accvgpr_read_b32 v18, a20
	v_accvgpr_read_b32 v19, a21
	global_store_dwordx4 v[14:15], v[2:5], off
	ds_read_b128 v[2:5], v118 offset:2352
	v_accvgpr_read_b32 v17, a19
	s_waitcnt lgkmcnt(1)
	v_mul_f64 v[10:11], v[18:19], v[8:9]
	v_fmac_f64_e32 v[10:11], v[16:17], v[6:7]
	v_mul_f64 v[6:7], v[18:19], v[6:7]
	v_fma_f64 v[6:7], v[16:17], v[8:9], -v[6:7]
	v_mul_f64 v[10:11], v[10:11], s[0:1]
	v_mul_f64 v[12:13], v[6:7], s[0:1]
	v_lshl_add_u64 v[14:15], v[14:15], 0, s[6:7]
	global_store_dwordx4 v[14:15], v[10:13], off
	v_accvgpr_read_b32 v8, a30
	v_accvgpr_read_b32 v9, a31
	;; [unrolled: 1-line block ×4, first 2 shown]
	s_waitcnt lgkmcnt(0)
	v_mul_f64 v[6:7], v[10:11], v[4:5]
	v_fmac_f64_e32 v[6:7], v[8:9], v[2:3]
	v_mul_f64 v[2:3], v[10:11], v[2:3]
	v_fma_f64 v[8:9], v[8:9], v[4:5], -v[2:3]
	ds_read_b128 v[2:5], v118 offset:2688
	v_accvgpr_read_b32 v16, a22
	v_mul_f64 v[6:7], v[6:7], s[0:1]
	v_mul_f64 v[8:9], v[8:9], s[0:1]
	v_lshl_add_u64 v[14:15], v[14:15], 0, s[6:7]
	v_accvgpr_read_b32 v18, a24
	v_accvgpr_read_b32 v19, a25
	global_store_dwordx4 v[14:15], v[6:9], off
	ds_read_b128 v[6:9], v118 offset:3024
	v_accvgpr_read_b32 v17, a23
	s_waitcnt lgkmcnt(1)
	v_mul_f64 v[10:11], v[18:19], v[4:5]
	v_fmac_f64_e32 v[10:11], v[16:17], v[2:3]
	v_mul_f64 v[2:3], v[18:19], v[2:3]
	v_fma_f64 v[2:3], v[16:17], v[4:5], -v[2:3]
	v_mul_f64 v[10:11], v[10:11], s[0:1]
	v_mul_f64 v[12:13], v[2:3], s[0:1]
	v_lshl_add_u64 v[14:15], v[14:15], 0, s[6:7]
	global_store_dwordx4 v[14:15], v[10:13], off
	v_accvgpr_read_b32 v16, a66
	v_lshl_add_u64 v[14:15], v[14:15], 0, s[6:7]
	v_accvgpr_read_b32 v10, a70
	v_accvgpr_read_b32 v12, a72
	;; [unrolled: 1-line block ×4, first 2 shown]
	s_waitcnt lgkmcnt(0)
	v_mul_f64 v[2:3], v[12:13], v[8:9]
	v_mul_f64 v[4:5], v[12:13], v[6:7]
	v_fmac_f64_e32 v[2:3], v[10:11], v[6:7]
	v_fma_f64 v[4:5], v[10:11], v[8:9], -v[4:5]
	ds_read_b128 v[6:9], v118 offset:3360
	v_mul_f64 v[2:3], v[2:3], s[0:1]
	v_mul_f64 v[4:5], v[4:5], s[0:1]
	v_accvgpr_read_b32 v18, a68
	v_accvgpr_read_b32 v19, a69
	global_store_dwordx4 v[14:15], v[2:5], off
	ds_read_b128 v[2:5], v118 offset:3696
	v_accvgpr_read_b32 v17, a67
	s_waitcnt lgkmcnt(1)
	v_mul_f64 v[10:11], v[18:19], v[8:9]
	v_fmac_f64_e32 v[10:11], v[16:17], v[6:7]
	v_mul_f64 v[6:7], v[18:19], v[6:7]
	v_fma_f64 v[6:7], v[16:17], v[8:9], -v[6:7]
	v_mul_f64 v[10:11], v[10:11], s[0:1]
	v_mul_f64 v[12:13], v[6:7], s[0:1]
	v_lshl_add_u64 v[14:15], v[14:15], 0, s[6:7]
	global_store_dwordx4 v[14:15], v[10:13], off
	v_accvgpr_read_b32 v8, a62
	v_accvgpr_read_b32 v9, a63
	;; [unrolled: 1-line block ×4, first 2 shown]
	s_waitcnt lgkmcnt(0)
	v_mul_f64 v[6:7], v[10:11], v[4:5]
	v_fmac_f64_e32 v[6:7], v[8:9], v[2:3]
	v_mul_f64 v[2:3], v[10:11], v[2:3]
	v_fma_f64 v[8:9], v[8:9], v[4:5], -v[2:3]
	ds_read_b128 v[2:5], v118 offset:4032
	v_accvgpr_read_b32 v16, a58
	v_mul_f64 v[6:7], v[6:7], s[0:1]
	v_mul_f64 v[8:9], v[8:9], s[0:1]
	v_lshl_add_u64 v[14:15], v[14:15], 0, s[6:7]
	v_accvgpr_read_b32 v18, a60
	v_accvgpr_read_b32 v19, a61
	global_store_dwordx4 v[14:15], v[6:9], off
	ds_read_b128 v[6:9], v118 offset:4368
	v_accvgpr_read_b32 v17, a59
	s_waitcnt lgkmcnt(1)
	v_mul_f64 v[10:11], v[18:19], v[4:5]
	v_fmac_f64_e32 v[10:11], v[16:17], v[2:3]
	v_mul_f64 v[2:3], v[18:19], v[2:3]
	v_fma_f64 v[2:3], v[16:17], v[4:5], -v[2:3]
	v_mul_f64 v[10:11], v[10:11], s[0:1]
	v_mul_f64 v[12:13], v[2:3], s[0:1]
	v_lshl_add_u64 v[14:15], v[14:15], 0, s[6:7]
	global_store_dwordx4 v[14:15], v[10:13], off
	v_accvgpr_read_b32 v16, a42
	v_lshl_add_u64 v[14:15], v[14:15], 0, s[6:7]
	v_accvgpr_read_b32 v10, a50
	v_accvgpr_read_b32 v12, a52
	;; [unrolled: 1-line block ×4, first 2 shown]
	s_waitcnt lgkmcnt(0)
	v_mul_f64 v[2:3], v[12:13], v[8:9]
	v_mul_f64 v[4:5], v[12:13], v[6:7]
	v_fmac_f64_e32 v[2:3], v[10:11], v[6:7]
	v_fma_f64 v[4:5], v[10:11], v[8:9], -v[4:5]
	ds_read_b128 v[6:9], v118 offset:4704
	v_mul_f64 v[2:3], v[2:3], s[0:1]
	v_mul_f64 v[4:5], v[4:5], s[0:1]
	v_accvgpr_read_b32 v18, a44
	v_accvgpr_read_b32 v19, a45
	global_store_dwordx4 v[14:15], v[2:5], off
	ds_read_b128 v[2:5], v118 offset:5040
	v_accvgpr_read_b32 v17, a43
	s_waitcnt lgkmcnt(1)
	v_mul_f64 v[10:11], v[18:19], v[8:9]
	v_fmac_f64_e32 v[10:11], v[16:17], v[6:7]
	v_mul_f64 v[6:7], v[18:19], v[6:7]
	v_fma_f64 v[6:7], v[16:17], v[8:9], -v[6:7]
	v_mul_f64 v[10:11], v[10:11], s[0:1]
	v_mul_f64 v[12:13], v[6:7], s[0:1]
	v_lshl_add_u64 v[14:15], v[14:15], 0, s[6:7]
	global_store_dwordx4 v[14:15], v[10:13], off
	v_accvgpr_read_b32 v8, a46
	v_accvgpr_read_b32 v9, a47
	;; [unrolled: 1-line block ×4, first 2 shown]
	s_waitcnt lgkmcnt(0)
	v_mul_f64 v[6:7], v[10:11], v[4:5]
	v_fmac_f64_e32 v[6:7], v[8:9], v[2:3]
	v_mul_f64 v[2:3], v[10:11], v[2:3]
	ds_read_b128 v[10:13], v118 offset:5376
	v_fma_f64 v[2:3], v[8:9], v[4:5], -v[2:3]
	v_mul_f64 v[8:9], v[2:3], s[0:1]
	v_lshl_add_u64 v[2:3], v[14:15], 0, s[6:7]
	v_accvgpr_read_b32 v14, a54
	v_mul_f64 v[6:7], v[6:7], s[0:1]
	v_accvgpr_read_b32 v16, a56
	v_accvgpr_read_b32 v17, a57
	global_store_dwordx4 v[2:3], v[6:9], off
	v_accvgpr_read_b32 v15, a55
	s_waitcnt lgkmcnt(0)
	v_mul_f64 v[4:5], v[16:17], v[12:13]
	v_mul_f64 v[6:7], v[16:17], v[10:11]
	v_fmac_f64_e32 v[4:5], v[14:15], v[10:11]
	v_fma_f64 v[6:7], v[14:15], v[12:13], -v[6:7]
	v_mul_f64 v[4:5], v[4:5], s[0:1]
	v_mul_f64 v[6:7], v[6:7], s[0:1]
	v_lshl_add_u64 v[2:3], v[2:3], 0, s[6:7]
	global_store_dwordx4 v[2:3], v[4:7], off
	s_and_b64 exec, exec, vcc
	s_cbranch_execz .LBB0_15
; %bb.14:
	v_accvgpr_read_b32 v19, a3
	v_accvgpr_read_b32 v18, a2
	global_load_dwordx4 v[4:7], v[18:19], off offset:272
	ds_read_b128 v[8:11], v118 offset:272
	ds_read_b128 v[12:15], v118 offset:608
	v_mov_b32_e32 v16, 0xffffec10
	s_mul_i32 s10, s5, 0xffffec10
	v_mad_u64_u32 v[16:17], s[8:9], s4, v16, v[2:3]
	s_sub_i32 s8, s10, s4
	s_nop 0
	v_add_u32_e32 v17, s8, v17
	v_mov_b32_e32 v20, 0x2a0
	v_or_b32_e32 v21, 0x14c, v150
	v_lshlrev_b32_e32 v22, 4, v21
	s_waitcnt vmcnt(0) lgkmcnt(1)
	v_mul_f64 v[2:3], v[10:11], v[6:7]
	v_mul_f64 v[6:7], v[8:9], v[6:7]
	v_fmac_f64_e32 v[2:3], v[8:9], v[4:5]
	v_fma_f64 v[4:5], v[4:5], v[10:11], -v[6:7]
	v_mul_f64 v[2:3], v[2:3], s[0:1]
	v_mul_f64 v[4:5], v[4:5], s[0:1]
	global_store_dwordx4 v[16:17], v[2:5], off
	global_load_dwordx4 v[2:5], v[18:19], off offset:608
	v_lshl_add_u64 v[16:17], v[16:17], 0, s[6:7]
	s_waitcnt vmcnt(0) lgkmcnt(0)
	v_mul_f64 v[6:7], v[14:15], v[4:5]
	v_mul_f64 v[4:5], v[12:13], v[4:5]
	v_fmac_f64_e32 v[6:7], v[12:13], v[2:3]
	v_fma_f64 v[4:5], v[2:3], v[14:15], -v[4:5]
	v_mul_f64 v[2:3], v[6:7], s[0:1]
	v_mul_f64 v[4:5], v[4:5], s[0:1]
	global_store_dwordx4 v[16:17], v[2:5], off
	global_load_dwordx4 v[2:5], v[18:19], off offset:944
	ds_read_b128 v[6:9], v118 offset:944
	ds_read_b128 v[10:13], v118 offset:1280
	v_lshl_add_u64 v[14:15], v[16:17], 0, s[6:7]
	s_waitcnt vmcnt(0) lgkmcnt(1)
	v_mul_f64 v[16:17], v[8:9], v[4:5]
	v_mul_f64 v[4:5], v[6:7], v[4:5]
	v_fmac_f64_e32 v[16:17], v[6:7], v[2:3]
	v_fma_f64 v[4:5], v[2:3], v[8:9], -v[4:5]
	v_mul_f64 v[2:3], v[16:17], s[0:1]
	v_mul_f64 v[4:5], v[4:5], s[0:1]
	global_store_dwordx4 v[14:15], v[2:5], off
	global_load_dwordx4 v[2:5], v[18:19], off offset:1280
	v_or_b32_e32 v9, 0x50, v150
	v_mad_u64_u32 v[6:7], s[8:9], s4, v9, 0
	v_mov_b32_e32 v8, v7
	v_mad_u64_u32 v[8:9], s[8:9], s5, v9, v[8:9]
	v_mov_b32_e32 v7, v8
	v_lshl_add_u64 v[6:7], v[6:7], 4, v[0:1]
	s_mul_i32 s8, s5, 0x2a0
	v_mad_u64_u32 v[14:15], s[10:11], s4, v20, v[14:15]
	v_add_u32_e32 v15, s8, v15
	s_movk_i32 s9, 0x1000
	s_waitcnt vmcnt(0) lgkmcnt(0)
	v_mul_f64 v[8:9], v[12:13], v[4:5]
	v_mul_f64 v[4:5], v[10:11], v[4:5]
	v_fmac_f64_e32 v[8:9], v[10:11], v[2:3]
	v_fma_f64 v[4:5], v[2:3], v[12:13], -v[4:5]
	v_mul_f64 v[2:3], v[8:9], s[0:1]
	v_mul_f64 v[4:5], v[4:5], s[0:1]
	global_store_dwordx4 v[6:7], v[2:5], off
	global_load_dwordx4 v[2:5], v[18:19], off offset:1616
	ds_read_b128 v[6:9], v118 offset:1616
	ds_read_b128 v[10:13], v118 offset:1952
	s_waitcnt vmcnt(0) lgkmcnt(1)
	v_mul_f64 v[16:17], v[8:9], v[4:5]
	v_mul_f64 v[4:5], v[6:7], v[4:5]
	v_fmac_f64_e32 v[16:17], v[6:7], v[2:3]
	v_fma_f64 v[4:5], v[2:3], v[8:9], -v[4:5]
	v_mul_f64 v[2:3], v[16:17], s[0:1]
	v_mul_f64 v[4:5], v[4:5], s[0:1]
	global_store_dwordx4 v[14:15], v[2:5], off
	global_load_dwordx4 v[2:5], v[18:19], off offset:1952
	v_lshl_add_u64 v[14:15], v[14:15], 0, s[6:7]
	s_waitcnt vmcnt(0) lgkmcnt(0)
	v_mul_f64 v[6:7], v[12:13], v[4:5]
	v_mul_f64 v[4:5], v[10:11], v[4:5]
	v_fmac_f64_e32 v[6:7], v[10:11], v[2:3]
	v_fma_f64 v[4:5], v[2:3], v[12:13], -v[4:5]
	v_mul_f64 v[2:3], v[6:7], s[0:1]
	v_mul_f64 v[4:5], v[4:5], s[0:1]
	global_store_dwordx4 v[14:15], v[2:5], off
	global_load_dwordx4 v[2:5], v[18:19], off offset:2288
	ds_read_b128 v[6:9], v118 offset:2288
	ds_read_b128 v[10:13], v118 offset:2624
	v_lshl_add_u64 v[14:15], v[14:15], 0, s[6:7]
	s_waitcnt vmcnt(0) lgkmcnt(1)
	v_mul_f64 v[16:17], v[8:9], v[4:5]
	v_mul_f64 v[4:5], v[6:7], v[4:5]
	v_fmac_f64_e32 v[16:17], v[6:7], v[2:3]
	v_fma_f64 v[4:5], v[2:3], v[8:9], -v[4:5]
	v_mul_f64 v[2:3], v[16:17], s[0:1]
	v_mul_f64 v[4:5], v[4:5], s[0:1]
	global_store_dwordx4 v[14:15], v[2:5], off
	global_load_dwordx4 v[2:5], v[18:19], off offset:2624
	v_or_b32_e32 v9, 0xa4, v150
	v_mad_u64_u32 v[6:7], s[10:11], s4, v9, 0
	v_mov_b32_e32 v8, v7
	v_mad_u64_u32 v[8:9], s[10:11], s5, v9, v[8:9]
	v_mov_b32_e32 v7, v8
	v_lshl_add_u64 v[6:7], v[6:7], 4, v[0:1]
	v_mad_u64_u32 v[14:15], s[10:11], s4, v20, v[14:15]
	v_add_u32_e32 v15, s8, v15
	s_waitcnt vmcnt(0) lgkmcnt(0)
	v_mul_f64 v[8:9], v[12:13], v[4:5]
	v_mul_f64 v[4:5], v[10:11], v[4:5]
	v_fmac_f64_e32 v[8:9], v[10:11], v[2:3]
	v_fma_f64 v[4:5], v[2:3], v[12:13], -v[4:5]
	v_mul_f64 v[2:3], v[8:9], s[0:1]
	v_mul_f64 v[4:5], v[4:5], s[0:1]
	global_store_dwordx4 v[6:7], v[2:5], off
	global_load_dwordx4 v[2:5], v[18:19], off offset:2960
	ds_read_b128 v[6:9], v118 offset:2960
	ds_read_b128 v[10:13], v118 offset:3296
	s_waitcnt vmcnt(0) lgkmcnt(1)
	v_mul_f64 v[16:17], v[8:9], v[4:5]
	v_mul_f64 v[4:5], v[6:7], v[4:5]
	v_fmac_f64_e32 v[16:17], v[6:7], v[2:3]
	v_fma_f64 v[4:5], v[2:3], v[8:9], -v[4:5]
	v_mul_f64 v[2:3], v[16:17], s[0:1]
	v_mul_f64 v[4:5], v[4:5], s[0:1]
	global_store_dwordx4 v[14:15], v[2:5], off
	global_load_dwordx4 v[2:5], v[18:19], off offset:3296
	v_lshl_add_u64 v[14:15], v[14:15], 0, s[6:7]
	s_waitcnt vmcnt(0) lgkmcnt(0)
	v_mul_f64 v[6:7], v[12:13], v[4:5]
	v_mul_f64 v[4:5], v[10:11], v[4:5]
	v_fmac_f64_e32 v[6:7], v[10:11], v[2:3]
	v_fma_f64 v[4:5], v[2:3], v[12:13], -v[4:5]
	v_mul_f64 v[2:3], v[6:7], s[0:1]
	v_mul_f64 v[4:5], v[4:5], s[0:1]
	global_store_dwordx4 v[14:15], v[2:5], off
	global_load_dwordx4 v[2:5], v[18:19], off offset:3632
	ds_read_b128 v[6:9], v118 offset:3632
	ds_read_b128 v[10:13], v118 offset:3968
	v_lshl_add_u64 v[14:15], v[14:15], 0, s[6:7]
	s_waitcnt vmcnt(0) lgkmcnt(1)
	v_mul_f64 v[16:17], v[8:9], v[4:5]
	v_mul_f64 v[4:5], v[6:7], v[4:5]
	v_fmac_f64_e32 v[16:17], v[6:7], v[2:3]
	v_fma_f64 v[4:5], v[2:3], v[8:9], -v[4:5]
	v_mul_f64 v[2:3], v[16:17], s[0:1]
	v_mul_f64 v[4:5], v[4:5], s[0:1]
	global_store_dwordx4 v[14:15], v[2:5], off
	global_load_dwordx4 v[2:5], v[18:19], off offset:3968
	v_or_b32_e32 v9, 0xf8, v150
	v_mad_u64_u32 v[6:7], s[10:11], s4, v9, 0
	v_mov_b32_e32 v8, v7
	v_mad_u64_u32 v[8:9], s[10:11], s5, v9, v[8:9]
	v_mov_b32_e32 v7, v8
	v_add_co_u32_e32 v16, vcc, s9, v18
	v_lshl_add_u64 v[6:7], v[6:7], 4, v[0:1]
	s_nop 0
	v_addc_co_u32_e32 v17, vcc, 0, v19, vcc
	v_mad_u64_u32 v[14:15], s[10:11], s4, v20, v[14:15]
	v_add_u32_e32 v15, s8, v15
	s_waitcnt vmcnt(0) lgkmcnt(0)
	v_mul_f64 v[8:9], v[12:13], v[4:5]
	v_mul_f64 v[4:5], v[10:11], v[4:5]
	v_fmac_f64_e32 v[8:9], v[10:11], v[2:3]
	v_fma_f64 v[4:5], v[2:3], v[12:13], -v[4:5]
	v_mul_f64 v[2:3], v[8:9], s[0:1]
	v_mul_f64 v[4:5], v[4:5], s[0:1]
	global_store_dwordx4 v[6:7], v[2:5], off
	global_load_dwordx4 v[2:5], v[16:17], off offset:208
	ds_read_b128 v[6:9], v118 offset:4304
	ds_read_b128 v[10:13], v118 offset:4640
	s_waitcnt vmcnt(0) lgkmcnt(1)
	v_mul_f64 v[18:19], v[8:9], v[4:5]
	v_mul_f64 v[4:5], v[6:7], v[4:5]
	v_fmac_f64_e32 v[18:19], v[6:7], v[2:3]
	v_fma_f64 v[4:5], v[2:3], v[8:9], -v[4:5]
	v_mul_f64 v[2:3], v[18:19], s[0:1]
	v_mul_f64 v[4:5], v[4:5], s[0:1]
	global_store_dwordx4 v[14:15], v[2:5], off
	global_load_dwordx4 v[2:5], v[16:17], off offset:544
	v_lshl_add_u64 v[14:15], v[14:15], 0, s[6:7]
	s_waitcnt vmcnt(0) lgkmcnt(0)
	v_mul_f64 v[6:7], v[12:13], v[4:5]
	v_mul_f64 v[4:5], v[10:11], v[4:5]
	v_fmac_f64_e32 v[6:7], v[10:11], v[2:3]
	v_fma_f64 v[4:5], v[2:3], v[12:13], -v[4:5]
	v_mul_f64 v[2:3], v[6:7], s[0:1]
	v_mul_f64 v[4:5], v[4:5], s[0:1]
	global_store_dwordx4 v[14:15], v[2:5], off
	global_load_dwordx4 v[2:5], v[16:17], off offset:880
	ds_read_b128 v[6:9], v118 offset:4976
	ds_read_b128 v[10:13], v118 offset:5312
	v_lshl_add_u64 v[14:15], v[14:15], 0, s[6:7]
	s_waitcnt vmcnt(0) lgkmcnt(1)
	v_mul_f64 v[18:19], v[8:9], v[4:5]
	v_mul_f64 v[4:5], v[6:7], v[4:5]
	v_fmac_f64_e32 v[18:19], v[6:7], v[2:3]
	v_fma_f64 v[4:5], v[2:3], v[8:9], -v[4:5]
	v_mul_f64 v[2:3], v[18:19], s[0:1]
	v_mul_f64 v[4:5], v[4:5], s[0:1]
	global_store_dwordx4 v[14:15], v[2:5], off
	global_load_dwordx4 v[2:5], v22, s[2:3]
	v_mad_u64_u32 v[6:7], s[2:3], s4, v21, 0
	v_mov_b32_e32 v8, v7
	v_mad_u64_u32 v[8:9], s[2:3], s5, v21, v[8:9]
	v_mov_b32_e32 v7, v8
	v_lshl_add_u64 v[6:7], v[6:7], 4, v[0:1]
	v_mad_u64_u32 v[8:9], s[2:3], s4, v20, v[14:15]
	v_add_u32_e32 v9, s8, v9
	s_waitcnt vmcnt(0) lgkmcnt(0)
	v_mul_f64 v[0:1], v[12:13], v[4:5]
	v_mul_f64 v[4:5], v[10:11], v[4:5]
	v_fmac_f64_e32 v[0:1], v[10:11], v[2:3]
	v_fma_f64 v[2:3], v[2:3], v[12:13], -v[4:5]
	v_mul_f64 v[0:1], v[0:1], s[0:1]
	v_mul_f64 v[2:3], v[2:3], s[0:1]
	global_store_dwordx4 v[6:7], v[0:3], off
	global_load_dwordx4 v[0:3], v[16:17], off offset:1552
	ds_read_b128 v[4:7], v118 offset:5648
	s_waitcnt vmcnt(0) lgkmcnt(0)
	v_mul_f64 v[10:11], v[6:7], v[2:3]
	v_mul_f64 v[2:3], v[4:5], v[2:3]
	v_fmac_f64_e32 v[10:11], v[4:5], v[0:1]
	v_fma_f64 v[2:3], v[0:1], v[6:7], -v[2:3]
	v_mul_f64 v[0:1], v[10:11], s[0:1]
	v_mul_f64 v[2:3], v[2:3], s[0:1]
	global_store_dwordx4 v[8:9], v[0:3], off
.LBB0_15:
	s_endpgm
	.section	.rodata,"a",@progbits
	.p2align	6, 0x0
	.amdhsa_kernel bluestein_single_fwd_len357_dim1_dp_op_CI_CI
		.amdhsa_group_segment_fixed_size 62832
		.amdhsa_private_segment_fixed_size 0
		.amdhsa_kernarg_size 104
		.amdhsa_user_sgpr_count 2
		.amdhsa_user_sgpr_dispatch_ptr 0
		.amdhsa_user_sgpr_queue_ptr 0
		.amdhsa_user_sgpr_kernarg_segment_ptr 1
		.amdhsa_user_sgpr_dispatch_id 0
		.amdhsa_user_sgpr_kernarg_preload_length 0
		.amdhsa_user_sgpr_kernarg_preload_offset 0
		.amdhsa_user_sgpr_private_segment_size 0
		.amdhsa_uses_dynamic_stack 0
		.amdhsa_enable_private_segment 0
		.amdhsa_system_sgpr_workgroup_id_x 1
		.amdhsa_system_sgpr_workgroup_id_y 0
		.amdhsa_system_sgpr_workgroup_id_z 0
		.amdhsa_system_sgpr_workgroup_info 0
		.amdhsa_system_vgpr_workitem_id 0
		.amdhsa_next_free_vgpr 452
		.amdhsa_next_free_sgpr 60
		.amdhsa_accum_offset 256
		.amdhsa_reserve_vcc 1
		.amdhsa_float_round_mode_32 0
		.amdhsa_float_round_mode_16_64 0
		.amdhsa_float_denorm_mode_32 3
		.amdhsa_float_denorm_mode_16_64 3
		.amdhsa_dx10_clamp 1
		.amdhsa_ieee_mode 1
		.amdhsa_fp16_overflow 0
		.amdhsa_tg_split 0
		.amdhsa_exception_fp_ieee_invalid_op 0
		.amdhsa_exception_fp_denorm_src 0
		.amdhsa_exception_fp_ieee_div_zero 0
		.amdhsa_exception_fp_ieee_overflow 0
		.amdhsa_exception_fp_ieee_underflow 0
		.amdhsa_exception_fp_ieee_inexact 0
		.amdhsa_exception_int_div_zero 0
	.end_amdhsa_kernel
	.text
.Lfunc_end0:
	.size	bluestein_single_fwd_len357_dim1_dp_op_CI_CI, .Lfunc_end0-bluestein_single_fwd_len357_dim1_dp_op_CI_CI
                                        ; -- End function
	.section	.AMDGPU.csdata,"",@progbits
; Kernel info:
; codeLenInByte = 45492
; NumSgprs: 66
; NumVgprs: 256
; NumAgprs: 196
; TotalNumVgprs: 452
; ScratchSize: 0
; MemoryBound: 0
; FloatMode: 240
; IeeeMode: 1
; LDSByteSize: 62832 bytes/workgroup (compile time only)
; SGPRBlocks: 8
; VGPRBlocks: 56
; NumSGPRsForWavesPerEU: 66
; NumVGPRsForWavesPerEU: 452
; AccumOffset: 256
; Occupancy: 1
; WaveLimiterHint : 1
; COMPUTE_PGM_RSRC2:SCRATCH_EN: 0
; COMPUTE_PGM_RSRC2:USER_SGPR: 2
; COMPUTE_PGM_RSRC2:TRAP_HANDLER: 0
; COMPUTE_PGM_RSRC2:TGID_X_EN: 1
; COMPUTE_PGM_RSRC2:TGID_Y_EN: 0
; COMPUTE_PGM_RSRC2:TGID_Z_EN: 0
; COMPUTE_PGM_RSRC2:TIDIG_COMP_CNT: 0
; COMPUTE_PGM_RSRC3_GFX90A:ACCUM_OFFSET: 63
; COMPUTE_PGM_RSRC3_GFX90A:TG_SPLIT: 0
	.text
	.p2alignl 6, 3212836864
	.fill 256, 4, 3212836864
	.type	__hip_cuid_7e7b519cab4be4f1,@object ; @__hip_cuid_7e7b519cab4be4f1
	.section	.bss,"aw",@nobits
	.globl	__hip_cuid_7e7b519cab4be4f1
__hip_cuid_7e7b519cab4be4f1:
	.byte	0                               ; 0x0
	.size	__hip_cuid_7e7b519cab4be4f1, 1

	.ident	"AMD clang version 19.0.0git (https://github.com/RadeonOpenCompute/llvm-project roc-6.4.0 25133 c7fe45cf4b819c5991fe208aaa96edf142730f1d)"
	.section	".note.GNU-stack","",@progbits
	.addrsig
	.addrsig_sym __hip_cuid_7e7b519cab4be4f1
	.amdgpu_metadata
---
amdhsa.kernels:
  - .agpr_count:     196
    .args:
      - .actual_access:  read_only
        .address_space:  global
        .offset:         0
        .size:           8
        .value_kind:     global_buffer
      - .actual_access:  read_only
        .address_space:  global
        .offset:         8
        .size:           8
        .value_kind:     global_buffer
      - .actual_access:  read_only
        .address_space:  global
        .offset:         16
        .size:           8
        .value_kind:     global_buffer
      - .actual_access:  read_only
        .address_space:  global
        .offset:         24
        .size:           8
        .value_kind:     global_buffer
      - .actual_access:  read_only
        .address_space:  global
        .offset:         32
        .size:           8
        .value_kind:     global_buffer
      - .offset:         40
        .size:           8
        .value_kind:     by_value
      - .address_space:  global
        .offset:         48
        .size:           8
        .value_kind:     global_buffer
      - .address_space:  global
        .offset:         56
        .size:           8
        .value_kind:     global_buffer
      - .address_space:  global
        .offset:         64
        .size:           8
        .value_kind:     global_buffer
      - .address_space:  global
        .offset:         72
        .size:           8
        .value_kind:     global_buffer
      - .offset:         80
        .size:           4
        .value_kind:     by_value
      - .address_space:  global
        .offset:         88
        .size:           8
        .value_kind:     global_buffer
      - .address_space:  global
        .offset:         96
        .size:           8
        .value_kind:     global_buffer
    .group_segment_fixed_size: 62832
    .kernarg_segment_align: 8
    .kernarg_segment_size: 104
    .language:       OpenCL C
    .language_version:
      - 2
      - 0
    .max_flat_workgroup_size: 187
    .name:           bluestein_single_fwd_len357_dim1_dp_op_CI_CI
    .private_segment_fixed_size: 0
    .sgpr_count:     66
    .sgpr_spill_count: 0
    .symbol:         bluestein_single_fwd_len357_dim1_dp_op_CI_CI.kd
    .uniform_work_group_size: 1
    .uses_dynamic_stack: false
    .vgpr_count:     452
    .vgpr_spill_count: 0
    .wavefront_size: 64
amdhsa.target:   amdgcn-amd-amdhsa--gfx950
amdhsa.version:
  - 1
  - 2
...

	.end_amdgpu_metadata
